;; amdgpu-corpus repo=ROCm/rocFFT kind=compiled arch=gfx906 opt=O3
	.text
	.amdgcn_target "amdgcn-amd-amdhsa--gfx906"
	.amdhsa_code_object_version 6
	.protected	fft_rtc_back_len714_factors_3_17_7_2_wgs_51_tpt_51_halfLds_sp_ip_CI_unitstride_sbrr_R2C_dirReg ; -- Begin function fft_rtc_back_len714_factors_3_17_7_2_wgs_51_tpt_51_halfLds_sp_ip_CI_unitstride_sbrr_R2C_dirReg
	.globl	fft_rtc_back_len714_factors_3_17_7_2_wgs_51_tpt_51_halfLds_sp_ip_CI_unitstride_sbrr_R2C_dirReg
	.p2align	8
	.type	fft_rtc_back_len714_factors_3_17_7_2_wgs_51_tpt_51_halfLds_sp_ip_CI_unitstride_sbrr_R2C_dirReg,@function
fft_rtc_back_len714_factors_3_17_7_2_wgs_51_tpt_51_halfLds_sp_ip_CI_unitstride_sbrr_R2C_dirReg: ; @fft_rtc_back_len714_factors_3_17_7_2_wgs_51_tpt_51_halfLds_sp_ip_CI_unitstride_sbrr_R2C_dirReg
; %bb.0:
	s_load_dwordx2 s[2:3], s[4:5], 0x50
	s_load_dwordx4 s[8:11], s[4:5], 0x0
	s_load_dwordx2 s[12:13], s[4:5], 0x18
	v_mul_u32_u24_e32 v1, 0x506, v0
	v_add_u32_sdwa v5, s6, v1 dst_sel:DWORD dst_unused:UNUSED_PAD src0_sel:DWORD src1_sel:WORD_1
	v_mov_b32_e32 v3, 0
	s_waitcnt lgkmcnt(0)
	v_cmp_lt_u64_e64 s[0:1], s[10:11], 2
	v_mov_b32_e32 v1, 0
	v_mov_b32_e32 v6, v3
	s_and_b64 vcc, exec, s[0:1]
	v_mov_b32_e32 v2, 0
	s_cbranch_vccnz .LBB0_8
; %bb.1:
	s_load_dwordx2 s[0:1], s[4:5], 0x10
	s_add_u32 s6, s12, 8
	s_addc_u32 s7, s13, 0
	v_mov_b32_e32 v1, 0
	v_mov_b32_e32 v2, 0
	s_waitcnt lgkmcnt(0)
	s_add_u32 s14, s0, 8
	s_addc_u32 s15, s1, 0
	s_mov_b64 s[16:17], 1
.LBB0_2:                                ; =>This Inner Loop Header: Depth=1
	s_load_dwordx2 s[18:19], s[14:15], 0x0
                                        ; implicit-def: $vgpr7_vgpr8
	s_waitcnt lgkmcnt(0)
	v_or_b32_e32 v4, s19, v6
	v_cmp_ne_u64_e32 vcc, 0, v[3:4]
	s_and_saveexec_b64 s[0:1], vcc
	s_xor_b64 s[20:21], exec, s[0:1]
	s_cbranch_execz .LBB0_4
; %bb.3:                                ;   in Loop: Header=BB0_2 Depth=1
	v_cvt_f32_u32_e32 v4, s18
	v_cvt_f32_u32_e32 v7, s19
	s_sub_u32 s0, 0, s18
	s_subb_u32 s1, 0, s19
	v_mac_f32_e32 v4, 0x4f800000, v7
	v_rcp_f32_e32 v4, v4
	v_mul_f32_e32 v4, 0x5f7ffffc, v4
	v_mul_f32_e32 v7, 0x2f800000, v4
	v_trunc_f32_e32 v7, v7
	v_mac_f32_e32 v4, 0xcf800000, v7
	v_cvt_u32_f32_e32 v7, v7
	v_cvt_u32_f32_e32 v4, v4
	v_mul_lo_u32 v8, s0, v7
	v_mul_hi_u32 v9, s0, v4
	v_mul_lo_u32 v11, s1, v4
	v_mul_lo_u32 v10, s0, v4
	v_add_u32_e32 v8, v9, v8
	v_add_u32_e32 v8, v8, v11
	v_mul_hi_u32 v9, v4, v10
	v_mul_lo_u32 v11, v4, v8
	v_mul_hi_u32 v13, v4, v8
	v_mul_hi_u32 v12, v7, v10
	v_mul_lo_u32 v10, v7, v10
	v_mul_hi_u32 v14, v7, v8
	v_add_co_u32_e32 v9, vcc, v9, v11
	v_addc_co_u32_e32 v11, vcc, 0, v13, vcc
	v_mul_lo_u32 v8, v7, v8
	v_add_co_u32_e32 v9, vcc, v9, v10
	v_addc_co_u32_e32 v9, vcc, v11, v12, vcc
	v_addc_co_u32_e32 v10, vcc, 0, v14, vcc
	v_add_co_u32_e32 v8, vcc, v9, v8
	v_addc_co_u32_e32 v9, vcc, 0, v10, vcc
	v_add_co_u32_e32 v4, vcc, v4, v8
	v_addc_co_u32_e32 v7, vcc, v7, v9, vcc
	v_mul_lo_u32 v8, s0, v7
	v_mul_hi_u32 v9, s0, v4
	v_mul_lo_u32 v10, s1, v4
	v_mul_lo_u32 v11, s0, v4
	v_add_u32_e32 v8, v9, v8
	v_add_u32_e32 v8, v8, v10
	v_mul_lo_u32 v12, v4, v8
	v_mul_hi_u32 v13, v4, v11
	v_mul_hi_u32 v14, v4, v8
	;; [unrolled: 1-line block ×3, first 2 shown]
	v_mul_lo_u32 v11, v7, v11
	v_mul_hi_u32 v9, v7, v8
	v_add_co_u32_e32 v12, vcc, v13, v12
	v_addc_co_u32_e32 v13, vcc, 0, v14, vcc
	v_mul_lo_u32 v8, v7, v8
	v_add_co_u32_e32 v11, vcc, v12, v11
	v_addc_co_u32_e32 v10, vcc, v13, v10, vcc
	v_addc_co_u32_e32 v9, vcc, 0, v9, vcc
	v_add_co_u32_e32 v8, vcc, v10, v8
	v_addc_co_u32_e32 v9, vcc, 0, v9, vcc
	v_add_co_u32_e32 v4, vcc, v4, v8
	v_addc_co_u32_e32 v9, vcc, v7, v9, vcc
	v_mad_u64_u32 v[7:8], s[0:1], v5, v9, 0
	v_mul_hi_u32 v10, v5, v4
	v_add_co_u32_e32 v11, vcc, v10, v7
	v_addc_co_u32_e32 v12, vcc, 0, v8, vcc
	v_mad_u64_u32 v[7:8], s[0:1], v6, v4, 0
	v_mad_u64_u32 v[9:10], s[0:1], v6, v9, 0
	v_add_co_u32_e32 v4, vcc, v11, v7
	v_addc_co_u32_e32 v4, vcc, v12, v8, vcc
	v_addc_co_u32_e32 v7, vcc, 0, v10, vcc
	v_add_co_u32_e32 v4, vcc, v4, v9
	v_addc_co_u32_e32 v9, vcc, 0, v7, vcc
	v_mul_lo_u32 v10, s19, v4
	v_mul_lo_u32 v11, s18, v9
	v_mad_u64_u32 v[7:8], s[0:1], s18, v4, 0
	v_add3_u32 v8, v8, v11, v10
	v_sub_u32_e32 v10, v6, v8
	v_mov_b32_e32 v11, s19
	v_sub_co_u32_e32 v7, vcc, v5, v7
	v_subb_co_u32_e64 v10, s[0:1], v10, v11, vcc
	v_subrev_co_u32_e64 v11, s[0:1], s18, v7
	v_subbrev_co_u32_e64 v10, s[0:1], 0, v10, s[0:1]
	v_cmp_le_u32_e64 s[0:1], s19, v10
	v_cndmask_b32_e64 v12, 0, -1, s[0:1]
	v_cmp_le_u32_e64 s[0:1], s18, v11
	v_cndmask_b32_e64 v11, 0, -1, s[0:1]
	v_cmp_eq_u32_e64 s[0:1], s19, v10
	v_cndmask_b32_e64 v10, v12, v11, s[0:1]
	v_add_co_u32_e64 v11, s[0:1], 2, v4
	v_addc_co_u32_e64 v12, s[0:1], 0, v9, s[0:1]
	v_add_co_u32_e64 v13, s[0:1], 1, v4
	v_addc_co_u32_e64 v14, s[0:1], 0, v9, s[0:1]
	v_subb_co_u32_e32 v8, vcc, v6, v8, vcc
	v_cmp_ne_u32_e64 s[0:1], 0, v10
	v_cmp_le_u32_e32 vcc, s19, v8
	v_cndmask_b32_e64 v10, v14, v12, s[0:1]
	v_cndmask_b32_e64 v12, 0, -1, vcc
	v_cmp_le_u32_e32 vcc, s18, v7
	v_cndmask_b32_e64 v7, 0, -1, vcc
	v_cmp_eq_u32_e32 vcc, s19, v8
	v_cndmask_b32_e32 v7, v12, v7, vcc
	v_cmp_ne_u32_e32 vcc, 0, v7
	v_cndmask_b32_e64 v7, v13, v11, s[0:1]
	v_cndmask_b32_e32 v8, v9, v10, vcc
	v_cndmask_b32_e32 v7, v4, v7, vcc
.LBB0_4:                                ;   in Loop: Header=BB0_2 Depth=1
	s_andn2_saveexec_b64 s[0:1], s[20:21]
	s_cbranch_execz .LBB0_6
; %bb.5:                                ;   in Loop: Header=BB0_2 Depth=1
	v_cvt_f32_u32_e32 v4, s18
	s_sub_i32 s20, 0, s18
	v_rcp_iflag_f32_e32 v4, v4
	v_mul_f32_e32 v4, 0x4f7ffffe, v4
	v_cvt_u32_f32_e32 v4, v4
	v_mul_lo_u32 v7, s20, v4
	v_mul_hi_u32 v7, v4, v7
	v_add_u32_e32 v4, v4, v7
	v_mul_hi_u32 v4, v5, v4
	v_mul_lo_u32 v7, v4, s18
	v_add_u32_e32 v8, 1, v4
	v_sub_u32_e32 v7, v5, v7
	v_subrev_u32_e32 v9, s18, v7
	v_cmp_le_u32_e32 vcc, s18, v7
	v_cndmask_b32_e32 v7, v7, v9, vcc
	v_cndmask_b32_e32 v4, v4, v8, vcc
	v_add_u32_e32 v8, 1, v4
	v_cmp_le_u32_e32 vcc, s18, v7
	v_cndmask_b32_e32 v7, v4, v8, vcc
	v_mov_b32_e32 v8, v3
.LBB0_6:                                ;   in Loop: Header=BB0_2 Depth=1
	s_or_b64 exec, exec, s[0:1]
	v_mul_lo_u32 v4, v8, s18
	v_mul_lo_u32 v11, v7, s19
	v_mad_u64_u32 v[9:10], s[0:1], v7, s18, 0
	s_load_dwordx2 s[0:1], s[6:7], 0x0
	s_add_u32 s16, s16, 1
	v_add3_u32 v4, v10, v11, v4
	v_sub_co_u32_e32 v5, vcc, v5, v9
	v_subb_co_u32_e32 v4, vcc, v6, v4, vcc
	s_waitcnt lgkmcnt(0)
	v_mul_lo_u32 v4, s0, v4
	v_mul_lo_u32 v6, s1, v5
	v_mad_u64_u32 v[1:2], s[0:1], s0, v5, v[1:2]
	s_addc_u32 s17, s17, 0
	s_add_u32 s6, s6, 8
	v_add3_u32 v2, v6, v2, v4
	v_mov_b32_e32 v4, s10
	v_mov_b32_e32 v5, s11
	s_addc_u32 s7, s7, 0
	v_cmp_ge_u64_e32 vcc, s[16:17], v[4:5]
	s_add_u32 s14, s14, 8
	s_addc_u32 s15, s15, 0
	s_cbranch_vccnz .LBB0_9
; %bb.7:                                ;   in Loop: Header=BB0_2 Depth=1
	v_mov_b32_e32 v5, v7
	v_mov_b32_e32 v6, v8
	s_branch .LBB0_2
.LBB0_8:
	v_mov_b32_e32 v8, v6
	v_mov_b32_e32 v7, v5
.LBB0_9:
	s_lshl_b64 s[0:1], s[10:11], 3
	s_add_u32 s0, s12, s0
	s_addc_u32 s1, s13, s1
	s_load_dwordx2 s[6:7], s[0:1], 0x0
	s_load_dwordx2 s[10:11], s[4:5], 0x20
                                        ; implicit-def: $vgpr40
                                        ; implicit-def: $vgpr36
                                        ; implicit-def: $vgpr39
	s_waitcnt lgkmcnt(0)
	v_mad_u64_u32 v[1:2], s[0:1], s6, v7, v[1:2]
	s_mov_b32 s0, 0x5050506
	v_mul_lo_u32 v3, s6, v8
	v_mul_lo_u32 v4, s7, v7
	v_mul_hi_u32 v5, v0, s0
	v_cmp_gt_u64_e64 s[0:1], s[10:11], v[7:8]
	v_cmp_le_u64_e32 vcc, s[10:11], v[7:8]
	v_add3_u32 v2, v4, v2, v3
	v_mul_u32_u24_e32 v3, 51, v5
	v_sub_u32_e32 v32, v0, v3
	v_add_u32_e32 v37, 51, v32
	s_and_saveexec_b64 s[4:5], vcc
	s_xor_b64 s[4:5], exec, s[4:5]
; %bb.10:
	v_add_u32_e32 v37, 51, v32
	v_add_u32_e32 v40, 0x66, v32
	;; [unrolled: 1-line block ×4, first 2 shown]
; %bb.11:
	s_or_saveexec_b64 s[4:5], s[4:5]
	v_lshlrev_b64 v[34:35], 3, v[1:2]
	v_lshl_add_u32 v43, v32, 3, 0
	s_xor_b64 exec, exec, s[4:5]
	s_cbranch_execz .LBB0_13
; %bb.12:
	v_mov_b32_e32 v33, 0
	v_mov_b32_e32 v0, s3
	v_add_co_u32_e32 v2, vcc, s2, v34
	v_addc_co_u32_e32 v3, vcc, v0, v35, vcc
	v_lshlrev_b64 v[0:1], 3, v[32:33]
	v_add_u32_e32 v40, 0x66, v32
	v_add_co_u32_e32 v0, vcc, v2, v0
	v_addc_co_u32_e32 v1, vcc, v3, v1, vcc
	v_add_co_u32_e32 v12, vcc, 0x1000, v0
	global_load_dwordx2 v[2:3], v[0:1], off
	global_load_dwordx2 v[4:5], v[0:1], off offset:408
	global_load_dwordx2 v[6:7], v[0:1], off offset:816
	;; [unrolled: 1-line block ×4, first 2 shown]
	v_addc_co_u32_e32 v13, vcc, 0, v1, vcc
	global_load_dwordx2 v[14:15], v[0:1], off offset:3264
	global_load_dwordx2 v[16:17], v[0:1], off offset:3672
	;; [unrolled: 1-line block ×9, first 2 shown]
	v_add_u32_e32 v36, 0x99, v32
	v_add_u32_e32 v39, 0xcc, v32
	;; [unrolled: 1-line block ×5, first 2 shown]
	s_waitcnt vmcnt(12)
	ds_write2_b64 v43, v[2:3], v[4:5] offset1:51
	s_waitcnt vmcnt(10)
	ds_write2_b64 v43, v[6:7], v[8:9] offset0:102 offset1:153
	s_waitcnt vmcnt(4)
	ds_write2_b64 v0, v[22:23], v[10:11] offset0:50 offset1:101
	ds_write2_b64 v0, v[14:15], v[16:17] offset0:152 offset1:203
	s_waitcnt vmcnt(2)
	ds_write2_b64 v43, v[24:25], v[26:27] offset0:204 offset1:255
	;; [unrolled: 3-line block ×3, first 2 shown]
.LBB0_13:
	s_or_b64 exec, exec, s[4:5]
	v_add_u32_e32 v2, 0x800, v43
	s_waitcnt lgkmcnt(0)
	; wave barrier
	s_waitcnt lgkmcnt(0)
	ds_read2_b64 v[4:7], v43 offset1:51
	ds_read2_b64 v[8:11], v43 offset0:204 offset1:238
	v_add_u32_e32 v0, 0xc00, v43
	ds_read2_b64 v[24:27], v2 offset0:33 offset1:84
	ds_read2_b64 v[12:15], v0 offset0:92 offset1:143
	v_cmp_gt_u32_e32 vcc, 34, v32
	s_waitcnt lgkmcnt(2)
	v_add_f32_e32 v0, v4, v10
	v_add_f32_e32 v1, v5, v11
	s_waitcnt lgkmcnt(1)
	v_add_f32_e32 v3, v6, v24
	s_waitcnt lgkmcnt(0)
	v_add_f32_e32 v22, v3, v14
	v_add_f32_e32 v3, v7, v25
	;; [unrolled: 1-line block ×3, first 2 shown]
	v_add_u32_e32 v3, 0x1000, v43
	ds_read2_b64 v[16:19], v43 offset0:102 offset1:153
	ds_read2_b64 v[28:31], v3 offset0:66 offset1:117
	;; [unrolled: 1-line block ×3, first 2 shown]
	v_add_f32_e32 v33, v24, v14
	v_sub_f32_e32 v14, v24, v14
	s_waitcnt lgkmcnt(2)
	v_add_f32_e32 v3, v16, v26
	s_waitcnt lgkmcnt(1)
	v_add_f32_e32 v24, v26, v28
	;; [unrolled: 2-line block ×3, first 2 shown]
	v_sub_f32_e32 v42, v26, v28
	v_add_f32_e32 v26, v2, v30
	v_add_f32_e32 v2, v19, v45
	;; [unrolled: 1-line block ×5, first 2 shown]
	v_sub_f32_e32 v21, v11, v13
	v_add_f32_e32 v11, v11, v13
	v_sub_f32_e32 v10, v10, v12
	v_sub_f32_e32 v38, v25, v15
	v_add_f32_e32 v15, v25, v15
	v_sub_f32_e32 v25, v27, v29
	v_add_f32_e32 v13, v17, v27
	v_add_f32_e32 v41, v27, v29
	;; [unrolled: 1-line block ×4, first 2 shown]
	ds_read_b64 v[2:3], v43 offset:5440
	v_add_f32_e32 v28, v8, v46
	v_fma_f32 v20, -0.5, v20, v4
	v_add_f32_e32 v48, v44, v30
	v_sub_f32_e32 v30, v44, v30
	s_waitcnt lgkmcnt(0)
	v_add_f32_e32 v44, v46, v2
	v_sub_f32_e32 v46, v46, v2
	v_add_f32_e32 v28, v28, v2
	v_mov_b32_e32 v2, v20
	v_fmac_f32_e32 v7, -0.5, v15
	v_add_f32_e32 v13, v13, v29
	v_add_f32_e32 v29, v9, v47
	v_fmac_f32_e32 v2, 0xbf5db3d7, v21
	v_fmac_f32_e32 v20, 0x3f5db3d7, v21
	v_fma_f32 v21, -0.5, v11, v5
	v_mov_b32_e32 v5, v7
	v_fma_f32 v24, -0.5, v24, v16
	v_sub_f32_e32 v49, v45, v31
	v_add_f32_e32 v31, v45, v31
	v_sub_f32_e32 v45, v47, v3
	v_add_f32_e32 v47, v47, v3
	v_add_f32_e32 v29, v29, v3
	v_mov_b32_e32 v3, v21
	v_fma_f32 v6, -0.5, v33, v6
	v_fmac_f32_e32 v5, 0x3f5db3d7, v14
	v_fmac_f32_e32 v7, 0xbf5db3d7, v14
	v_mov_b32_e32 v14, v24
	v_fmac_f32_e32 v3, 0x3f5db3d7, v10
	v_fmac_f32_e32 v21, 0xbf5db3d7, v10
	v_mov_b32_e32 v4, v6
	v_fmac_f32_e32 v14, 0xbf5db3d7, v25
	v_fmac_f32_e32 v24, 0x3f5db3d7, v25
	v_fma_f32 v25, -0.5, v41, v17
	v_fmac_f32_e32 v19, -0.5, v31
	v_lshl_add_u32 v10, v32, 4, v43
	v_fmac_f32_e32 v4, 0xbf5db3d7, v38
	v_mov_b32_e32 v15, v25
	v_fma_f32 v18, -0.5, v48, v18
	v_mov_b32_e32 v17, v19
	v_fma_f32 v8, -0.5, v44, v8
	v_fmac_f32_e32 v9, -0.5, v47
	s_waitcnt lgkmcnt(0)
	; wave barrier
	ds_write2_b64 v10, v[0:1], v[2:3] offset1:1
	ds_write_b64 v10, v[20:21] offset:16
	v_mad_i32_i24 v10, v37, 24, 0
	v_fmac_f32_e32 v6, 0x3f5db3d7, v38
	v_fmac_f32_e32 v15, 0x3f5db3d7, v42
	v_mov_b32_e32 v16, v18
	v_fmac_f32_e32 v17, 0x3f5db3d7, v30
	v_fmac_f32_e32 v19, 0xbf5db3d7, v30
	v_mov_b32_e32 v30, v8
	v_mov_b32_e32 v31, v9
	ds_write2_b64 v10, v[22:23], v[4:5] offset1:1
	ds_write_b64 v10, v[6:7] offset:16
	v_mad_i32_i24 v10, v40, 24, 0
	v_fmac_f32_e32 v25, 0xbf5db3d7, v42
	v_fmac_f32_e32 v16, 0xbf5db3d7, v49
	;; [unrolled: 1-line block ×7, first 2 shown]
	ds_write2_b64 v10, v[12:13], v[14:15] offset1:1
	ds_write_b64 v10, v[24:25] offset:16
	v_mad_i32_i24 v10, v36, 24, 0
	ds_write2_b64 v10, v[26:27], v[16:17] offset1:1
	ds_write_b64 v10, v[18:19] offset:16
	s_and_saveexec_b64 s[4:5], vcc
	s_cbranch_execz .LBB0_15
; %bb.14:
	v_mad_i32_i24 v10, v39, 24, 0
	ds_write2_b64 v10, v[28:29], v[30:31] offset1:1
	ds_write_b64 v10, v[8:9] offset:16
.LBB0_15:
	s_or_b64 exec, exec, s[4:5]
	v_cmp_gt_u32_e32 vcc, 42, v32
	s_waitcnt lgkmcnt(0)
	; wave barrier
	s_waitcnt lgkmcnt(0)
                                        ; implicit-def: $vgpr42
	s_and_saveexec_b64 s[4:5], vcc
	s_cbranch_execz .LBB0_17
; %bb.16:
	v_add_u32_e32 v8, 0x400, v43
	ds_read2_b64 v[0:3], v43 offset1:42
	ds_read2_b64 v[20:23], v43 offset0:84 offset1:126
	ds_read2_b64 v[4:7], v43 offset0:168 offset1:210
	;; [unrolled: 1-line block ×3, first 2 shown]
	v_add_u32_e32 v8, 0x800, v43
	ds_read2_b64 v[24:27], v8 offset0:80 offset1:122
	ds_read2_b64 v[16:19], v8 offset0:164 offset1:206
	v_add_u32_e32 v8, 0xc00, v43
	ds_read2_b64 v[28:31], v8 offset0:120 offset1:162
	v_add_u32_e32 v8, 0x1000, v43
	ds_read2_b64 v[8:11], v8 offset0:76 offset1:118
	ds_read_b64 v[41:42], v43 offset:5376
.LBB0_17:
	s_or_b64 exec, exec, s[4:5]
	s_waitcnt lgkmcnt(0)
	; wave barrier
	s_waitcnt lgkmcnt(0)
	s_and_saveexec_b64 s[4:5], vcc
	s_cbranch_execz .LBB0_19
; %bb.18:
	s_movk_i32 s6, 0xab
	v_mul_lo_u16_sdwa v33, v32, s6 dst_sel:DWORD dst_unused:UNUSED_PAD src0_sel:BYTE_0 src1_sel:DWORD
	v_lshrrev_b16_e32 v33, 9, v33
	v_mul_lo_u16_e32 v38, 3, v33
	v_sub_u16_e32 v38, v32, v38
	v_mov_b32_e32 v44, 7
	v_lshlrev_b32_sdwa v44, v44, v38 dst_sel:DWORD dst_unused:UNUSED_PAD src0_sel:DWORD src1_sel:BYTE_0
	global_load_dwordx4 v[58:61], v44, s[8:9] offset:80
	global_load_dwordx4 v[62:65], v44, s[8:9] offset:96
	global_load_dwordx4 v[66:69], v44, s[8:9] offset:112
	global_load_dwordx4 v[70:73], v44, s[8:9] offset:16
	global_load_dwordx4 v[74:77], v44, s[8:9]
	global_load_dwordx4 v[78:81], v44, s[8:9] offset:32
	global_load_dwordx4 v[82:85], v44, s[8:9] offset:48
	;; [unrolled: 1-line block ×3, first 2 shown]
	s_mov_b32 s6, 0xbf1a4643
	s_mov_b32 s7, 0xbe8c1d8e
	;; [unrolled: 1-line block ×8, first 2 shown]
	s_waitcnt vmcnt(7)
	v_mul_f32_e32 v45, v19, v59
	v_mul_f32_e32 v59, v18, v59
	s_waitcnt vmcnt(5)
	v_mul_f32_e32 v48, v42, v69
	v_mul_f32_e32 v46, v11, v67
	;; [unrolled: 3-line block ×3, first 2 shown]
	v_mul_f32_e32 v52, v21, v77
	v_fmac_f32_e32 v48, v41, v68
	v_fmac_f32_e32 v53, v2, v74
	v_mul_f32_e32 v44, v31, v63
	v_mul_f32_e32 v47, v29, v61
	;; [unrolled: 1-line block ×11, first 2 shown]
	v_fmac_f32_e32 v46, v10, v66
	v_fmac_f32_e32 v50, v22, v70
	;; [unrolled: 1-line block ×3, first 2 shown]
	v_sub_f32_e32 v22, v53, v48
	v_fmac_f32_e32 v45, v18, v58
	v_fma_f32 v58, v19, v58, -v59
	v_fmac_f32_e32 v47, v28, v60
	v_fma_f32 v59, v29, v60, -v61
	;; [unrolled: 2-line block ×4, first 2 shown]
	v_fma_f32 v62, v11, v66, -v67
	v_fma_f32 v41, v42, v68, -v69
	;; [unrolled: 1-line block ×4, first 2 shown]
	v_sub_f32_e32 v21, v52, v46
	v_mul_f32_e32 v10, 0xbf4c4adb, v22
	v_mul_f32_e32 v51, v5, v73
	v_add_f32_e32 v77, v67, v41
	v_mul_f32_e32 v11, 0x3f763a35, v21
	v_mov_b32_e32 v2, v10
	s_waitcnt vmcnt(2)
	v_mul_f32_e32 v54, v7, v79
	v_mul_f32_e32 v55, v13, v81
	v_fmac_f32_e32 v51, v4, v72
	v_add_f32_e32 v76, v64, v62
	v_sub_f32_e32 v20, v50, v49
	v_mov_b32_e32 v3, v11
	v_fmac_f32_e32 v2, 0xbf1a4643, v77
	v_mul_f32_e32 v73, v4, v73
	v_mul_f32_e32 v81, v12, v81
	v_fma_f32 v42, v23, v70, -v71
	v_fmac_f32_e32 v54, v6, v78
	v_fmac_f32_e32 v55, v12, v80
	v_sub_f32_e32 v19, v51, v44
	v_mul_f32_e32 v12, 0xbeb8f4ab, v20
	v_fmac_f32_e32 v3, 0xbe8c1d8e, v76
	v_add_f32_e32 v2, v1, v2
	v_mul_f32_e32 v79, v6, v79
	s_waitcnt vmcnt(1)
	v_mul_f32_e32 v56, v15, v83
	v_fma_f32 v63, v5, v72, -v73
	v_fma_f32 v66, v13, v80, -v81
	v_add_f32_e32 v75, v42, v61
	v_sub_f32_e32 v18, v54, v47
	v_mul_f32_e32 v13, 0xbf06c442, v19
	v_mov_b32_e32 v4, v12
	v_add_f32_e32 v2, v3, v2
	s_waitcnt vmcnt(0)
	v_mul_f32_e32 v3, v16, v89
	v_mul_f32_e32 v83, v14, v83
	v_fma_f32 v65, v7, v78, -v79
	v_fmac_f32_e32 v56, v14, v82
	v_add_f32_e32 v74, v63, v60
	v_mov_b32_e32 v5, v13
	v_fmac_f32_e32 v4, 0x3f6eb680, v75
	v_mul_f32_e32 v70, v17, v89
	v_fma_f32 v72, v17, v88, -v3
	v_mul_f32_e32 v3, v26, v87
	v_mul_f32_e32 v14, 0x3f7ee86f, v18
	v_fmac_f32_e32 v5, 0xbf59a7d5, v74
	v_add_f32_e32 v2, v4, v2
	v_fmac_f32_e32 v70, v16, v88
	v_fma_f32 v73, v27, v86, -v3
	v_add_f32_e32 v78, v65, v59
	v_mov_b32_e32 v3, v14
	v_sub_f32_e32 v16, v55, v45
	v_fma_f32 v68, v15, v82, -v83
	v_add_f32_e32 v2, v5, v2
	v_fmac_f32_e32 v3, 0x3dbcf732, v78
	v_mul_f32_e32 v15, 0xbf2c7751, v16
	v_add_f32_e32 v2, v3, v2
	v_add_f32_e32 v79, v66, v58
	v_mov_b32_e32 v3, v15
	v_sub_f32_e32 v17, v56, v70
	v_fmac_f32_e32 v3, 0x3f3d2fb0, v79
	v_mul_f32_e32 v90, 0xbe3c28d5, v17
	v_add_f32_e32 v2, v3, v2
	v_add_f32_e32 v80, v68, v72
	v_mov_b32_e32 v3, v90
	v_sub_f32_e32 v81, v67, v41
	v_mul_f32_e32 v57, v25, v85
	v_fmac_f32_e32 v3, 0xbf7ba420, v80
	v_add_f32_e32 v23, v53, v48
	v_mul_f32_e32 v91, 0xbf4c4adb, v81
	v_sub_f32_e32 v82, v64, v62
	v_mul_f32_e32 v85, v24, v85
	v_fmac_f32_e32 v57, v24, v84
	v_add_f32_e32 v2, v3, v2
	v_fma_f32 v3, v23, s6, -v91
	v_add_f32_e32 v24, v52, v46
	v_mul_f32_e32 v92, 0x3f763a35, v82
	v_sub_f32_e32 v83, v42, v61
	v_fma_f32 v69, v25, v84, -v85
	v_mul_f32_e32 v71, v27, v87
	v_add_f32_e32 v3, v0, v3
	v_fma_f32 v4, v24, s7, -v92
	v_add_f32_e32 v25, v50, v49
	v_mul_f32_e32 v93, 0xbeb8f4ab, v83
	v_sub_f32_e32 v84, v63, v60
	v_fmac_f32_e32 v71, v26, v86
	v_add_f32_e32 v3, v4, v3
	v_fma_f32 v4, v25, s11, -v93
	v_add_f32_e32 v26, v51, v44
	v_mul_f32_e32 v94, 0xbf06c442, v84
	v_sub_f32_e32 v85, v65, v59
	v_add_f32_e32 v3, v4, v3
	v_fma_f32 v4, v26, s10, -v94
	v_add_f32_e32 v27, v54, v47
	v_mul_f32_e32 v95, 0x3f7ee86f, v85
	v_sub_f32_e32 v86, v66, v58
	;; [unrolled: 5-line block ×4, first 2 shown]
	v_add_f32_e32 v3, v4, v3
	v_fma_f32 v4, v29, s13, -v97
	v_mul_f32_e32 v98, 0x3f65296c, v31
	v_add_f32_e32 v4, v4, v3
	v_add_f32_e32 v88, v69, v73
	v_mov_b32_e32 v3, v98
	v_sub_f32_e32 v89, v69, v73
	v_fmac_f32_e32 v3, 0x3ee437d1, v88
	v_add_f32_e32 v30, v57, v71
	v_mul_f32_e32 v99, 0x3f65296c, v89
	v_add_f32_e32 v3, v3, v2
	v_fma_f32 v2, v30, s15, -v99
	v_mul_f32_e32 v6, 0xbe3c28d5, v22
	v_add_f32_e32 v2, v2, v4
	v_mov_b32_e32 v4, v6
	v_mul_f32_e32 v7, 0x3eb8f4ab, v21
	v_fmac_f32_e32 v4, 0xbf7ba420, v77
	v_mov_b32_e32 v5, v7
	v_add_f32_e32 v4, v1, v4
	v_fmac_f32_e32 v5, 0x3f6eb680, v76
	v_mul_f32_e32 v8, 0xbf06c442, v20
	v_add_f32_e32 v4, v5, v4
	v_mov_b32_e32 v5, v8
	v_fmac_f32_e32 v5, 0xbf59a7d5, v75
	v_mul_f32_e32 v9, 0x3f2c7751, v19
	v_add_f32_e32 v4, v5, v4
	v_mov_b32_e32 v5, v9
	v_fmac_f32_e32 v5, 0x3f3d2fb0, v74
	v_mul_f32_e32 v100, 0xbf4c4adb, v18
	v_add_f32_e32 v4, v5, v4
	v_mov_b32_e32 v5, v100
	v_fmac_f32_e32 v5, 0xbf1a4643, v78
	v_mul_f32_e32 v101, 0x3f65296c, v16
	v_add_f32_e32 v4, v5, v4
	v_mov_b32_e32 v5, v101
	v_fmac_f32_e32 v5, 0x3ee437d1, v79
	v_mul_f32_e32 v102, 0xbf763a35, v17
	v_add_f32_e32 v4, v5, v4
	v_mov_b32_e32 v5, v102
	v_fmac_f32_e32 v5, 0xbe8c1d8e, v80
	v_mul_f32_e32 v103, 0xbe3c28d5, v81
	v_add_f32_e32 v4, v5, v4
	v_fma_f32 v5, v23, s13, -v103
	v_mul_f32_e32 v104, 0x3eb8f4ab, v82
	v_add_f32_e32 v5, v0, v5
	v_fma_f32 v105, v24, s11, -v104
	v_fma_f32 v6, v77, s13, -v6
	v_add_f32_e32 v5, v105, v5
	v_mul_f32_e32 v105, 0xbf06c442, v83
	v_add_f32_e32 v6, v1, v6
	v_fma_f32 v7, v76, s11, -v7
	v_fma_f32 v106, v25, s10, -v105
	v_add_f32_e32 v6, v7, v6
	v_fma_f32 v7, v75, s10, -v8
	v_add_f32_e32 v5, v106, v5
	v_mul_f32_e32 v106, 0x3f2c7751, v84
	v_add_f32_e32 v6, v7, v6
	v_fma_f32 v7, v74, s14, -v9
	v_fma_f32 v107, v26, s14, -v106
	v_add_f32_e32 v6, v7, v6
	v_fma_f32 v7, v78, s6, -v100
	v_add_f32_e32 v5, v107, v5
	v_mul_f32_e32 v107, 0xbf4c4adb, v85
	v_add_f32_e32 v6, v7, v6
	v_fma_f32 v7, v79, s15, -v101
	v_fma_f32 v108, v27, s6, -v107
	v_add_f32_e32 v6, v7, v6
	v_fma_f32 v7, v80, s7, -v102
	v_fmac_f32_e32 v103, 0xbf7ba420, v23
	v_add_f32_e32 v5, v108, v5
	v_mul_f32_e32 v108, 0x3f65296c, v86
	v_add_f32_e32 v6, v7, v6
	v_add_f32_e32 v7, v0, v103
	v_fmac_f32_e32 v104, 0x3f6eb680, v24
	v_fma_f32 v109, v28, s15, -v108
	v_add_f32_e32 v7, v104, v7
	v_fmac_f32_e32 v105, 0xbf59a7d5, v25
	v_add_f32_e32 v5, v109, v5
	v_mul_f32_e32 v109, 0xbf763a35, v87
	v_add_f32_e32 v7, v105, v7
	v_fmac_f32_e32 v106, 0x3f3d2fb0, v26
	v_fma_f32 v110, v29, s7, -v109
	v_mul_f32_e32 v111, 0x3f7ee86f, v31
	v_add_f32_e32 v7, v106, v7
	v_fmac_f32_e32 v107, 0xbf1a4643, v27
	v_add_f32_e32 v110, v110, v5
	v_mov_b32_e32 v5, v111
	v_add_f32_e32 v7, v107, v7
	v_fmac_f32_e32 v108, 0x3ee437d1, v28
	v_fmac_f32_e32 v5, 0x3dbcf732, v88
	v_mul_f32_e32 v112, 0x3f7ee86f, v89
	v_add_f32_e32 v7, v108, v7
	v_fmac_f32_e32 v109, 0xbe8c1d8e, v29
	v_add_f32_e32 v5, v5, v4
	v_fma_f32 v4, v30, s12, -v112
	v_add_f32_e32 v8, v109, v7
	v_fma_f32 v7, v88, s12, -v111
	v_fmac_f32_e32 v112, 0x3dbcf732, v30
	v_mul_f32_e32 v100, 0xbf59a7d5, v77
	v_add_f32_e32 v7, v7, v6
	v_add_f32_e32 v6, v112, v8
	v_mov_b32_e32 v8, v100
	v_mul_f32_e32 v101, 0x3ee437d1, v76
	v_fmac_f32_e32 v8, 0x3f06c442, v22
	v_mov_b32_e32 v9, v101
	v_add_f32_e32 v8, v1, v8
	v_fmac_f32_e32 v9, 0xbf65296c, v21
	v_mul_f32_e32 v102, 0x3dbcf732, v75
	v_add_f32_e32 v8, v9, v8
	v_mov_b32_e32 v9, v102
	v_fmac_f32_e32 v9, 0x3f7ee86f, v20
	v_mul_f32_e32 v103, 0xbf1a4643, v74
	v_add_f32_e32 v8, v9, v8
	v_mov_b32_e32 v9, v103
	;; [unrolled: 4-line block ×5, first 2 shown]
	v_fma_f32 v10, v77, s6, -v10
	v_fmac_f32_e32 v9, 0xbf2c7751, v17
	v_mul_f32_e32 v107, 0xbf06c442, v81
	v_add_f32_e32 v10, v1, v10
	v_fma_f32 v11, v76, s7, -v11
	v_add_f32_e32 v8, v9, v8
	v_mov_b32_e32 v9, v107
	v_mul_f32_e32 v108, 0x3f65296c, v82
	v_add_f32_e32 v10, v11, v10
	v_fma_f32 v11, v75, s11, -v12
	v_fmac_f32_e32 v9, 0xbf59a7d5, v23
	v_mov_b32_e32 v109, v108
	v_add_f32_e32 v10, v11, v10
	v_fma_f32 v11, v74, s10, -v13
	v_add_f32_e32 v9, v0, v9
	v_fmac_f32_e32 v109, 0x3ee437d1, v24
	v_add_f32_e32 v10, v11, v10
	v_fma_f32 v11, v78, s12, -v14
	v_add_f32_e32 v9, v109, v9
	v_mul_f32_e32 v109, 0xbf7ee86f, v83
	v_add_f32_e32 v10, v11, v10
	v_fma_f32 v11, v79, s14, -v15
	v_add_f32_e32 v4, v4, v110
	v_mov_b32_e32 v110, v109
	v_add_f32_e32 v10, v11, v10
	v_fma_f32 v11, v80, s13, -v90
	v_fmac_f32_e32 v91, 0xbf1a4643, v23
	v_fmac_f32_e32 v110, 0x3dbcf732, v25
	v_add_f32_e32 v10, v11, v10
	v_add_f32_e32 v11, v0, v91
	v_fmac_f32_e32 v92, 0xbe8c1d8e, v24
	v_add_f32_e32 v9, v110, v9
	v_mul_f32_e32 v110, 0x3f4c4adb, v84
	v_add_f32_e32 v11, v92, v11
	v_fmac_f32_e32 v93, 0x3f6eb680, v25
	v_mov_b32_e32 v111, v110
	v_add_f32_e32 v11, v93, v11
	v_fmac_f32_e32 v94, 0xbf59a7d5, v26
	v_fmac_f32_e32 v111, 0xbf1a4643, v26
	v_add_f32_e32 v11, v94, v11
	v_fmac_f32_e32 v95, 0x3dbcf732, v27
	v_add_f32_e32 v9, v111, v9
	v_mul_f32_e32 v111, 0xbeb8f4ab, v85
	v_add_f32_e32 v11, v95, v11
	v_fmac_f32_e32 v96, 0x3f3d2fb0, v28
	v_mov_b32_e32 v112, v111
	v_add_f32_e32 v11, v96, v11
	v_fmac_f32_e32 v97, 0xbf7ba420, v29
	v_fmac_f32_e32 v112, 0x3f6eb680, v27
	v_add_f32_e32 v12, v97, v11
	v_fma_f32 v11, v88, s15, -v98
	v_fmac_f32_e32 v99, 0x3ee437d1, v30
	v_mul_f32_e32 v94, 0xbe8c1d8e, v77
	v_add_f32_e32 v9, v112, v9
	v_mul_f32_e32 v112, 0xbe3c28d5, v86
	v_add_f32_e32 v11, v11, v10
	v_add_f32_e32 v10, v99, v12
	v_mov_b32_e32 v12, v94
	v_mul_f32_e32 v95, 0xbf59a7d5, v76
	v_mov_b32_e32 v113, v112
	v_fmac_f32_e32 v12, 0x3f763a35, v22
	v_mov_b32_e32 v13, v95
	v_fmac_f32_e32 v113, 0xbf7ba420, v28
	v_add_f32_e32 v12, v1, v12
	v_fmac_f32_e32 v13, 0xbf06c442, v21
	v_mul_f32_e32 v96, 0x3f3d2fb0, v75
	v_add_f32_e32 v9, v113, v9
	v_mul_f32_e32 v113, 0x3f2c7751, v87
	v_add_f32_e32 v12, v13, v12
	v_mov_b32_e32 v13, v96
	v_mov_b32_e32 v114, v113
	v_fmac_f32_e32 v13, 0xbf2c7751, v20
	v_mul_f32_e32 v97, 0x3ee437d1, v74
	v_fmac_f32_e32 v114, 0x3f3d2fb0, v29
	v_mul_f32_e32 v115, 0xbe8c1d8e, v88
	v_add_f32_e32 v12, v13, v12
	v_mov_b32_e32 v13, v97
	v_add_f32_e32 v114, v114, v9
	v_mov_b32_e32 v9, v115
	v_fmac_f32_e32 v13, 0x3f65296c, v19
	v_mul_f32_e32 v98, 0xbf7ba420, v78
	v_fmac_f32_e32 v9, 0x3f763a35, v31
	v_mul_f32_e32 v116, 0xbf763a35, v89
	v_add_f32_e32 v12, v13, v12
	v_mov_b32_e32 v13, v98
	v_add_f32_e32 v9, v9, v8
	v_mov_b32_e32 v8, v116
	v_fmac_f32_e32 v13, 0x3e3c28d5, v18
	v_mul_f32_e32 v99, 0x3dbcf732, v79
	v_fmac_f32_e32 v8, 0xbe8c1d8e, v30
	v_add_f32_e32 v12, v13, v12
	v_mov_b32_e32 v13, v99
	v_add_f32_e32 v8, v8, v114
	v_fmac_f32_e32 v13, 0xbf7ee86f, v16
	v_mul_f32_e32 v114, 0x3f6eb680, v80
	v_add_f32_e32 v12, v13, v12
	v_mov_b32_e32 v13, v114
	v_fmac_f32_e32 v13, 0x3eb8f4ab, v17
	v_mul_f32_e32 v117, 0xbf763a35, v81
	v_add_f32_e32 v12, v13, v12
	v_mov_b32_e32 v13, v117
	v_mul_f32_e32 v118, 0x3f06c442, v82
	v_fmac_f32_e32 v13, 0xbe8c1d8e, v23
	v_mov_b32_e32 v14, v118
	v_add_f32_e32 v13, v0, v13
	v_fmac_f32_e32 v14, 0xbf59a7d5, v24
	v_mul_f32_e32 v119, 0x3f2c7751, v83
	v_add_f32_e32 v13, v14, v13
	v_mov_b32_e32 v14, v119
	v_fmac_f32_e32 v14, 0x3f3d2fb0, v25
	v_mul_f32_e32 v120, 0xbf65296c, v84
	v_add_f32_e32 v13, v14, v13
	v_mov_b32_e32 v14, v120
	v_fmac_f32_e32 v14, 0x3ee437d1, v26
	v_mul_f32_e32 v121, 0xbe3c28d5, v85
	v_add_f32_e32 v13, v14, v13
	v_mov_b32_e32 v14, v121
	v_fmac_f32_e32 v14, 0xbf7ba420, v27
	v_mul_f32_e32 v122, 0x3f7ee86f, v86
	v_add_f32_e32 v13, v14, v13
	v_mov_b32_e32 v14, v122
	v_fmac_f32_e32 v14, 0x3dbcf732, v28
	v_mul_f32_e32 v123, 0xbeb8f4ab, v87
	v_add_f32_e32 v13, v14, v13
	v_mov_b32_e32 v14, v123
	v_fmac_f32_e32 v14, 0x3f6eb680, v29
	v_mul_f32_e32 v124, 0xbf1a4643, v88
	v_add_f32_e32 v14, v14, v13
	v_mov_b32_e32 v13, v124
	v_fmac_f32_e32 v13, 0x3f4c4adb, v31
	v_mul_f32_e32 v125, 0xbf4c4adb, v89
	v_add_f32_e32 v13, v13, v12
	v_mov_b32_e32 v12, v125
	v_fmac_f32_e32 v12, 0xbf1a4643, v30
	v_mul_f32_e32 v126, 0x3dbcf732, v77
	v_add_f32_e32 v12, v12, v14
	v_mov_b32_e32 v14, v126
	v_mul_f32_e32 v127, 0xbf7ba420, v76
	v_fmac_f32_e32 v14, 0x3f7ee86f, v22
	v_mov_b32_e32 v15, v127
	v_add_f32_e32 v14, v1, v14
	v_fmac_f32_e32 v15, 0x3e3c28d5, v21
	v_mul_f32_e32 v128, 0xbe8c1d8e, v75
	v_add_f32_e32 v14, v15, v14
	v_mov_b32_e32 v15, v128
	v_fmac_f32_e32 v15, 0xbf763a35, v20
	v_mul_f32_e32 v129, 0x3f6eb680, v74
	v_add_f32_e32 v14, v15, v14
	v_mov_b32_e32 v15, v129
	v_fmac_f32_e32 v15, 0xbeb8f4ab, v19
	v_mul_f32_e32 v130, 0x3ee437d1, v78
	v_add_f32_e32 v14, v15, v14
	v_mov_b32_e32 v15, v130
	v_fmac_f32_e32 v15, 0x3f65296c, v18
	v_mul_f32_e32 v131, 0xbf59a7d5, v79
	v_add_f32_e32 v14, v15, v14
	v_mov_b32_e32 v15, v131
	v_fmac_f32_e32 v15, 0x3f06c442, v16
	v_mul_f32_e32 v132, 0xbf1a4643, v80
	v_add_f32_e32 v14, v15, v14
	v_mov_b32_e32 v15, v132
	v_fmac_f32_e32 v15, 0xbf4c4adb, v17
	v_mul_f32_e32 v133, 0xbf7ee86f, v81
	v_add_f32_e32 v14, v15, v14
	v_mov_b32_e32 v15, v133
	v_mul_f32_e32 v134, 0xbe3c28d5, v82
	v_fmac_f32_e32 v15, 0x3dbcf732, v23
	v_mov_b32_e32 v90, v134
	v_add_f32_e32 v15, v0, v15
	v_fmac_f32_e32 v90, 0xbf7ba420, v24
	v_mul_f32_e32 v135, 0x3f763a35, v83
	v_add_f32_e32 v15, v90, v15
	v_mov_b32_e32 v90, v135
	v_fmac_f32_e32 v90, 0xbe8c1d8e, v25
	v_mul_f32_e32 v136, 0x3eb8f4ab, v84
	v_add_f32_e32 v15, v90, v15
	v_mov_b32_e32 v90, v136
	v_fmac_f32_e32 v90, 0x3f6eb680, v26
	v_mul_f32_e32 v137, 0xbf65296c, v85
	v_add_f32_e32 v15, v90, v15
	v_mov_b32_e32 v90, v137
	v_fmac_f32_e32 v90, 0x3ee437d1, v27
	v_mul_f32_e32 v138, 0xbf06c442, v86
	v_add_f32_e32 v15, v90, v15
	v_mov_b32_e32 v90, v138
	v_fmac_f32_e32 v90, 0xbf59a7d5, v28
	v_mul_f32_e32 v139, 0x3f4c4adb, v87
	v_add_f32_e32 v15, v90, v15
	v_mov_b32_e32 v90, v139
	v_fmac_f32_e32 v90, 0xbf1a4643, v29
	v_mul_f32_e32 v140, 0x3f3d2fb0, v88
	v_add_f32_e32 v90, v90, v15
	v_mov_b32_e32 v15, v140
	v_fmac_f32_e32 v15, 0xbf2c7751, v31
	v_mul_f32_e32 v141, 0x3f2c7751, v89
	v_add_f32_e32 v15, v15, v14
	v_mov_b32_e32 v14, v141
	v_fmac_f32_e32 v14, 0x3f3d2fb0, v30
	v_mul_f32_e32 v142, 0x3ee437d1, v77
	v_add_f32_e32 v14, v14, v90
	v_mov_b32_e32 v90, v142
	v_mul_f32_e32 v143, 0xbf1a4643, v76
	v_fmac_f32_e32 v90, 0x3f65296c, v22
	v_mov_b32_e32 v91, v143
	v_add_f32_e32 v90, v1, v90
	v_fmac_f32_e32 v91, 0x3f4c4adb, v21
	v_mul_f32_e32 v144, 0xbf7ba420, v75
	v_add_f32_e32 v90, v91, v90
	v_mov_b32_e32 v91, v144
	v_fmac_f32_e32 v91, 0xbe3c28d5, v20
	v_mul_f32_e32 v145, 0xbe8c1d8e, v74
	v_add_f32_e32 v90, v91, v90
	v_mov_b32_e32 v91, v145
	v_fmac_f32_e32 v91, 0xbf763a35, v19
	v_mul_f32_e32 v146, 0x3f3d2fb0, v78
	v_add_f32_e32 v90, v91, v90
	v_mov_b32_e32 v91, v146
	v_fmac_f32_e32 v91, 0xbf2c7751, v18
	v_mul_f32_e32 v147, 0x3f6eb680, v79
	v_add_f32_e32 v90, v91, v90
	v_mov_b32_e32 v91, v147
	;; [unrolled: 64-line block ×3, first 2 shown]
	v_fmac_f32_e32 v93, 0xbf763a35, v16
	v_mul_f32_e32 v164, 0x3ee437d1, v80
	v_add_f32_e32 v92, v93, v92
	v_mov_b32_e32 v93, v164
	v_fmac_f32_e32 v93, 0xbf65296c, v17
	v_mul_f32_e32 v165, 0xbf2c7751, v81
	v_add_f32_e32 v92, v93, v92
	v_mov_b32_e32 v93, v165
	v_mul_f32_e32 v166, 0xbf7ee86f, v82
	v_add_f32_e32 v67, v1, v67
	v_add_f32_e32 v53, v0, v53
	v_fmac_f32_e32 v93, 0x3f3d2fb0, v23
	v_mov_b32_e32 v167, v166
	v_add_f32_e32 v64, v67, v64
	v_add_f32_e32 v52, v53, v52
	;; [unrolled: 1-line block ×3, first 2 shown]
	v_fmac_f32_e32 v167, 0x3dbcf732, v24
	v_add_f32_e32 v42, v64, v42
	v_add_f32_e32 v50, v52, v50
	v_add_f32_e32 v93, v167, v93
	v_mul_f32_e32 v167, 0xbf4c4adb, v83
	v_add_f32_e32 v42, v42, v63
	v_add_f32_e32 v50, v50, v51
	v_mov_b32_e32 v168, v167
	v_add_f32_e32 v42, v42, v65
	v_add_f32_e32 v50, v50, v54
	v_fmac_f32_e32 v168, 0xbf1a4643, v25
	v_add_f32_e32 v42, v42, v66
	v_add_f32_e32 v50, v50, v55
	v_add_f32_e32 v93, v168, v93
	v_mul_f32_e32 v168, 0xbe3c28d5, v84
	v_add_f32_e32 v42, v42, v68
	v_add_f32_e32 v50, v50, v56
	v_mov_b32_e32 v169, v168
	v_add_f32_e32 v42, v42, v69
	v_add_f32_e32 v50, v50, v57
	;; [unrolled: 10-line block ×4, first 2 shown]
	v_fmac_f32_e32 v171, 0xbe8c1d8e, v28
	v_add_f32_e32 v42, v42, v62
	v_add_f32_e32 v44, v44, v46
	v_fmac_f32_e32 v100, 0xbf06c442, v22
	v_add_f32_e32 v93, v171, v93
	v_mul_f32_e32 v171, 0x3f65296c, v87
	v_add_f32_e32 v42, v42, v41
	v_add_f32_e32 v41, v44, v48
	;; [unrolled: 1-line block ×3, first 2 shown]
	v_fmac_f32_e32 v101, 0x3f65296c, v21
	v_fma_f32 v45, v23, s10, -v107
	v_mov_b32_e32 v172, v171
	v_add_f32_e32 v44, v101, v44
	v_fmac_f32_e32 v102, 0xbf7ee86f, v20
	v_add_f32_e32 v45, v0, v45
	v_fma_f32 v46, v24, s15, -v108
	v_fmac_f32_e32 v172, 0x3ee437d1, v29
	v_mul_f32_e32 v173, 0x3f6eb680, v88
	v_add_f32_e32 v44, v102, v44
	v_fmac_f32_e32 v103, 0x3f4c4adb, v19
	v_add_f32_e32 v45, v46, v45
	v_fma_f32 v46, v25, s12, -v109
	v_add_f32_e32 v172, v172, v93
	v_mov_b32_e32 v93, v173
	v_add_f32_e32 v44, v103, v44
	v_fmac_f32_e32 v104, 0xbeb8f4ab, v18
	v_add_f32_e32 v45, v46, v45
	v_fma_f32 v46, v26, s6, -v110
	v_fmac_f32_e32 v93, 0xbeb8f4ab, v31
	v_mul_f32_e32 v174, 0x3eb8f4ab, v89
	v_add_f32_e32 v44, v104, v44
	v_fmac_f32_e32 v105, 0xbe3c28d5, v16
	v_add_f32_e32 v45, v46, v45
	v_fma_f32 v46, v27, s11, -v111
	v_add_f32_e32 v93, v93, v92
	v_mov_b32_e32 v92, v174
	v_add_f32_e32 v44, v105, v44
	v_fmac_f32_e32 v106, 0x3f2c7751, v17
	v_add_f32_e32 v45, v46, v45
	v_fma_f32 v46, v28, s13, -v112
	v_fmac_f32_e32 v92, 0x3f6eb680, v30
	v_mul_f32_e32 v77, 0x3f6eb680, v77
	v_add_f32_e32 v44, v106, v44
	v_add_f32_e32 v45, v46, v45
	v_fma_f32 v46, v29, s14, -v113
	v_fmac_f32_e32 v115, 0xbf763a35, v31
	v_add_f32_e32 v92, v92, v172
	v_mov_b32_e32 v172, v77
	v_mul_f32_e32 v76, 0x3f3d2fb0, v76
	v_add_f32_e32 v46, v46, v45
	v_add_f32_e32 v45, v115, v44
	v_fma_f32 v44, v30, s7, -v116
	v_fmac_f32_e32 v94, 0xbf763a35, v22
	v_fmac_f32_e32 v172, 0x3eb8f4ab, v22
	v_mov_b32_e32 v175, v76
	v_add_f32_e32 v44, v44, v46
	v_add_f32_e32 v46, v1, v94
	v_fmac_f32_e32 v95, 0x3f06c442, v21
	v_fma_f32 v47, v23, s7, -v117
	v_add_f32_e32 v172, v1, v172
	v_fmac_f32_e32 v175, 0x3f2c7751, v21
	v_add_f32_e32 v46, v95, v46
	v_fmac_f32_e32 v96, 0x3f2c7751, v20
	v_add_f32_e32 v47, v0, v47
	v_fma_f32 v48, v24, s10, -v118
	v_add_f32_e32 v172, v175, v172
	v_mul_f32_e32 v175, 0x3ee437d1, v75
	v_add_f32_e32 v46, v96, v46
	v_fmac_f32_e32 v97, 0xbf65296c, v19
	v_add_f32_e32 v47, v48, v47
	v_fma_f32 v48, v25, s14, -v119
	v_mov_b32_e32 v75, v175
	v_add_f32_e32 v46, v97, v46
	v_fmac_f32_e32 v98, 0xbe3c28d5, v18
	v_add_f32_e32 v47, v48, v47
	v_fma_f32 v48, v26, s15, -v120
	v_fmac_f32_e32 v75, 0x3f65296c, v20
	v_add_f32_e32 v46, v98, v46
	v_fmac_f32_e32 v99, 0x3f7ee86f, v16
	v_add_f32_e32 v47, v48, v47
	v_fma_f32 v48, v27, s13, -v121
	v_add_f32_e32 v75, v75, v172
	v_mul_f32_e32 v172, 0x3dbcf732, v74
	v_add_f32_e32 v46, v99, v46
	v_fmac_f32_e32 v114, 0xbeb8f4ab, v17
	v_add_f32_e32 v47, v48, v47
	v_fma_f32 v48, v28, s12, -v122
	v_mov_b32_e32 v74, v172
	v_add_f32_e32 v46, v114, v46
	v_add_f32_e32 v47, v48, v47
	v_fma_f32 v48, v29, s11, -v123
	v_fmac_f32_e32 v124, 0xbf4c4adb, v31
	v_fmac_f32_e32 v74, 0x3f7ee86f, v19
	v_mul_f32_e32 v78, 0xbe8c1d8e, v78
	v_add_f32_e32 v48, v48, v47
	v_add_f32_e32 v47, v124, v46
	v_fma_f32 v46, v30, s6, -v125
	v_fmac_f32_e32 v126, 0xbf7ee86f, v22
	v_add_f32_e32 v74, v74, v75
	v_mov_b32_e32 v75, v78
	v_add_f32_e32 v46, v46, v48
	v_add_f32_e32 v48, v1, v126
	v_fmac_f32_e32 v127, 0xbe3c28d5, v21
	v_fma_f32 v49, v23, s12, -v133
	v_fmac_f32_e32 v75, 0x3f763a35, v18
	v_mul_f32_e32 v79, 0xbf1a4643, v79
	v_add_f32_e32 v48, v127, v48
	v_fmac_f32_e32 v128, 0x3f763a35, v20
	v_add_f32_e32 v49, v0, v49
	v_fma_f32 v50, v24, s13, -v134
	v_add_f32_e32 v74, v75, v74
	v_mov_b32_e32 v75, v79
	v_add_f32_e32 v48, v128, v48
	v_fmac_f32_e32 v129, 0x3eb8f4ab, v19
	v_add_f32_e32 v49, v50, v49
	v_fma_f32 v50, v25, s7, -v135
	v_fmac_f32_e32 v75, 0x3f4c4adb, v16
	v_mul_f32_e32 v80, 0xbf59a7d5, v80
	v_add_f32_e32 v48, v129, v48
	v_fmac_f32_e32 v130, 0xbf65296c, v18
	v_add_f32_e32 v49, v50, v49
	v_fma_f32 v50, v26, s11, -v136
	v_add_f32_e32 v74, v75, v74
	v_mov_b32_e32 v75, v80
	v_add_f32_e32 v48, v130, v48
	v_fmac_f32_e32 v131, 0xbf06c442, v16
	v_add_f32_e32 v49, v50, v49
	v_fma_f32 v50, v27, s15, -v137
	v_fmac_f32_e32 v75, 0x3f06c442, v17
	v_mul_f32_e32 v81, 0xbeb8f4ab, v81
	v_add_f32_e32 v48, v131, v48
	v_fmac_f32_e32 v132, 0x3f4c4adb, v17
	v_add_f32_e32 v49, v50, v49
	v_fma_f32 v50, v28, s10, -v138
	v_add_f32_e32 v74, v75, v74
	v_mov_b32_e32 v75, v81
	v_mul_f32_e32 v82, 0xbf2c7751, v82
	v_add_f32_e32 v48, v132, v48
	v_add_f32_e32 v49, v50, v49
	v_fma_f32 v50, v29, s6, -v139
	v_fmac_f32_e32 v140, 0x3f2c7751, v31
	v_fmac_f32_e32 v75, 0x3f6eb680, v23
	v_mov_b32_e32 v176, v82
	v_add_f32_e32 v50, v50, v49
	v_add_f32_e32 v49, v140, v48
	v_fma_f32 v48, v30, s14, -v141
	v_fmac_f32_e32 v142, 0xbf65296c, v22
	v_add_f32_e32 v75, v0, v75
	v_fmac_f32_e32 v176, 0x3f3d2fb0, v24
	v_mul_f32_e32 v83, 0xbf65296c, v83
	v_add_f32_e32 v48, v48, v50
	v_add_f32_e32 v50, v1, v142
	v_fmac_f32_e32 v143, 0xbf4c4adb, v21
	v_fma_f32 v51, v23, s15, -v149
	v_add_f32_e32 v75, v176, v75
	v_mov_b32_e32 v176, v83
	v_add_f32_e32 v50, v143, v50
	v_fmac_f32_e32 v144, 0x3e3c28d5, v20
	v_add_f32_e32 v51, v0, v51
	v_fma_f32 v52, v24, s6, -v150
	v_fmac_f32_e32 v176, 0x3ee437d1, v25
	v_mul_f32_e32 v84, 0xbf7ee86f, v84
	v_add_f32_e32 v50, v144, v50
	v_fmac_f32_e32 v145, 0x3f763a35, v19
	v_add_f32_e32 v51, v52, v51
	v_fma_f32 v52, v25, s13, -v151
	v_add_f32_e32 v75, v176, v75
	v_mov_b32_e32 v176, v84
	v_add_f32_e32 v50, v145, v50
	v_fmac_f32_e32 v146, 0x3f2c7751, v18
	v_add_f32_e32 v51, v52, v51
	v_fma_f32 v52, v26, s7, -v152
	v_fmac_f32_e32 v176, 0x3dbcf732, v26
	v_mul_f32_e32 v85, 0xbf763a35, v85
	v_add_f32_e32 v50, v146, v50
	v_fmac_f32_e32 v147, 0xbeb8f4ab, v16
	v_add_f32_e32 v51, v52, v51
	v_fma_f32 v52, v27, s14, -v153
	v_add_f32_e32 v75, v176, v75
	v_mov_b32_e32 v176, v85
	v_add_f32_e32 v50, v147, v50
	v_fmac_f32_e32 v148, 0xbf7ee86f, v17
	v_add_f32_e32 v51, v52, v51
	v_fma_f32 v52, v28, s11, -v154
	v_fmac_f32_e32 v176, 0xbe8c1d8e, v27
	v_mul_f32_e32 v86, 0xbf4c4adb, v86
	v_add_f32_e32 v50, v148, v50
	v_add_f32_e32 v51, v52, v51
	v_fma_f32 v52, v29, s12, -v155
	v_fmac_f32_e32 v156, 0xbf06c442, v31
	v_fmac_f32_e32 v163, 0x3f763a35, v16
	v_fma_f32 v53, v23, s14, -v165
	v_fmac_f32_e32 v79, 0xbf4c4adb, v16
	v_fma_f32 v16, v23, s11, -v81
	v_add_f32_e32 v75, v176, v75
	v_mov_b32_e32 v176, v86
	v_add_f32_e32 v52, v52, v51
	v_add_f32_e32 v51, v156, v50
	v_fma_f32 v50, v30, s10, -v157
	v_fmac_f32_e32 v158, 0xbf2c7751, v22
	v_add_f32_e32 v53, v0, v53
	v_add_f32_e32 v0, v0, v16
	v_fma_f32 v16, v24, s14, -v82
	v_fmac_f32_e32 v176, 0xbf1a4643, v28
	v_mul_f32_e32 v87, 0xbf06c442, v87
	v_add_f32_e32 v50, v50, v52
	v_add_f32_e32 v52, v1, v158
	v_fmac_f32_e32 v159, 0xbf7ee86f, v21
	v_fmac_f32_e32 v77, 0xbeb8f4ab, v22
	v_add_f32_e32 v0, v16, v0
	v_fma_f32 v16, v25, s15, -v83
	v_add_f32_e32 v75, v176, v75
	v_mov_b32_e32 v176, v87
	v_add_f32_e32 v52, v159, v52
	v_fmac_f32_e32 v160, 0xbf4c4adb, v20
	v_fma_f32 v54, v24, s12, -v166
	v_fmac_f32_e32 v76, 0xbf2c7751, v21
	v_add_f32_e32 v1, v1, v77
	v_add_f32_e32 v0, v16, v0
	v_fma_f32 v16, v26, s12, -v84
	v_fmac_f32_e32 v176, 0xbf59a7d5, v29
	v_mul_f32_e32 v88, 0xbf7ba420, v88
	v_add_f32_e32 v52, v160, v52
	v_fmac_f32_e32 v161, 0xbe3c28d5, v19
	v_add_f32_e32 v53, v54, v53
	v_fma_f32 v54, v25, s6, -v167
	v_add_f32_e32 v1, v76, v1
	v_fmac_f32_e32 v175, 0xbf65296c, v20
	v_add_f32_e32 v0, v16, v0
	v_fma_f32 v16, v27, s7, -v85
	v_add_f32_e32 v176, v176, v75
	v_mov_b32_e32 v75, v88
	v_add_f32_e32 v52, v161, v52
	v_fmac_f32_e32 v162, 0x3f06c442, v18
	v_add_f32_e32 v53, v54, v53
	v_fma_f32 v54, v26, s13, -v168
	v_add_f32_e32 v1, v175, v1
	v_fmac_f32_e32 v172, 0xbf7ee86f, v19
	v_add_f32_e32 v0, v16, v0
	v_fma_f32 v16, v28, s6, -v86
	v_fmac_f32_e32 v75, 0x3e3c28d5, v31
	v_mul_f32_e32 v89, 0xbe3c28d5, v89
	v_add_f32_e32 v52, v162, v52
	v_add_f32_e32 v53, v54, v53
	v_fma_f32 v54, v27, s10, -v169
	v_add_f32_e32 v1, v172, v1
	v_fmac_f32_e32 v78, 0xbf763a35, v18
	v_add_f32_e32 v0, v16, v0
	v_fma_f32 v16, v29, s10, -v87
	v_add_f32_e32 v75, v75, v74
	v_mov_b32_e32 v74, v89
	v_add_f32_e32 v52, v163, v52
	v_fmac_f32_e32 v164, 0x3f65296c, v17
	v_add_f32_e32 v53, v54, v53
	v_fma_f32 v54, v28, s7, -v170
	v_add_f32_e32 v1, v78, v1
	v_fmac_f32_e32 v80, 0xbf06c442, v17
	v_add_f32_e32 v0, v16, v0
	v_fma_f32 v16, v30, s13, -v89
	v_mov_b32_e32 v17, 3
	v_fmac_f32_e32 v74, 0xbf7ba420, v30
	v_add_f32_e32 v52, v164, v52
	v_add_f32_e32 v53, v54, v53
	v_fma_f32 v54, v29, s15, -v171
	v_fmac_f32_e32 v173, 0x3eb8f4ab, v31
	v_add_f32_e32 v1, v79, v1
	v_add_f32_e32 v0, v16, v0
	v_mul_u32_u24_e32 v16, 0x198, v33
	v_lshlrev_b32_sdwa v17, v17, v38 dst_sel:DWORD dst_unused:UNUSED_PAD src0_sel:DWORD src1_sel:BYTE_0
	v_add_f32_e32 v74, v74, v176
	v_add_f32_e32 v54, v54, v53
	;; [unrolled: 1-line block ×3, first 2 shown]
	v_fma_f32 v52, v30, s11, -v174
	v_add_f32_e32 v1, v80, v1
	v_fmac_f32_e32 v88, 0xbe3c28d5, v31
	v_add3_u32 v16, 0, v16, v17
	v_add_f32_e32 v52, v52, v54
	v_add_f32_e32 v1, v88, v1
	ds_write2_b64 v16, v[41:42], v[74:75] offset1:3
	ds_write2_b64 v16, v[92:93], v[90:91] offset0:6 offset1:9
	ds_write2_b64 v16, v[14:15], v[12:13] offset0:12 offset1:15
	;; [unrolled: 1-line block ×7, first 2 shown]
	ds_write_b64 v16, v[0:1] offset:384
.LBB0_19:
	s_or_b64 exec, exec, s[4:5]
	v_mul_u32_u24_e32 v0, 6, v32
	v_lshlrev_b32_e32 v8, 3, v0
	s_waitcnt lgkmcnt(0)
	; wave barrier
	s_waitcnt lgkmcnt(0)
	global_load_dwordx4 v[0:3], v8, s[8:9] offset:384
	global_load_dwordx4 v[4:7], v8, s[8:9] offset:400
	;; [unrolled: 1-line block ×3, first 2 shown]
	ds_read2_b64 v[21:24], v43 offset1:153
	v_lshl_add_u32 v15, v40, 3, 0
	v_lshl_add_u32 v14, v39, 3, 0
	v_add_u32_e32 v10, 0x400, v43
	v_add_u32_e32 v56, 0x800, v43
	;; [unrolled: 1-line block ×3, first 2 shown]
	v_lshl_add_u32 v16, v37, 3, 0
	ds_read_b64 v[8:9], v43 offset:5304
	ds_read2_b64 v[25:28], v10 offset0:127 offset1:178
	ds_read2_b64 v[44:47], v56 offset0:101 offset1:152
	ds_read_b64 v[12:13], v15
	ds_read2_b64 v[48:51], v56 offset0:203 offset1:254
	ds_read_b64 v[29:30], v14
	ds_read2_b64 v[52:55], v11 offset0:49 offset1:100
	ds_read_b64 v[41:42], v16
	s_mov_b32 s5, 0xbf5ff5aa
	s_mov_b32 s6, 0x3f3bfb3b
	;; [unrolled: 1-line block ×4, first 2 shown]
	s_waitcnt lgkmcnt(0)
	; wave barrier
	s_waitcnt lgkmcnt(0)
	s_movk_i32 s4, 0x1000
	s_waitcnt vmcnt(2)
	v_mul_f32_e32 v31, v1, v13
	v_mul_f32_e32 v38, v3, v30
	s_waitcnt vmcnt(0)
	v_mul_f32_e32 v62, v51, v18
	v_mul_f32_e32 v64, v55, v20
	;; [unrolled: 1-line block ×14, first 2 shown]
	v_fmac_f32_e32 v31, v0, v12
	v_fmac_f32_e32 v38, v2, v29
	;; [unrolled: 1-line block ×4, first 2 shown]
	v_mul_f32_e32 v61, v7, v46
	v_mul_f32_e32 v3, v25, v3
	;; [unrolled: 1-line block ×7, first 2 shown]
	v_fma_f32 v12, v0, v13, -v33
	v_fma_f32 v13, v2, v30, -v57
	v_fmac_f32_e32 v58, v4, v27
	v_fma_f32 v27, v4, v28, -v59
	v_fmac_f32_e32 v60, v6, v46
	v_fma_f32 v29, v51, v17, -v63
	v_fma_f32 v30, v55, v19, -v65
	v_fmac_f32_e32 v66, v23, v0
	v_fma_f32 v23, v24, v0, -v1
	v_fmac_f32_e32 v67, v25, v2
	v_fmac_f32_e32 v68, v44, v4
	v_fma_f32 v25, v45, v4, -v5
	v_add_f32_e32 v0, v31, v64
	v_add_f32_e32 v4, v38, v62
	v_mul_f32_e32 v20, v8, v20
	v_fma_f32 v28, v6, v47, -v61
	v_fma_f32 v24, v26, v2, -v3
	v_fmac_f32_e32 v69, v48, v6
	v_fma_f32 v26, v49, v6, -v7
	v_fmac_f32_e32 v70, v52, v17
	;; [unrolled: 2-line block ×3, first 2 shown]
	v_add_f32_e32 v1, v12, v30
	v_sub_f32_e32 v3, v12, v30
	v_add_f32_e32 v5, v13, v29
	v_sub_f32_e32 v6, v38, v62
	;; [unrolled: 2-line block ×3, first 2 shown]
	v_add_f32_e32 v17, v4, v0
	v_fma_f32 v19, v9, v19, -v20
	v_sub_f32_e32 v2, v31, v64
	v_sub_f32_e32 v7, v13, v29
	v_add_f32_e32 v9, v27, v28
	v_sub_f32_e32 v13, v28, v27
	v_add_f32_e32 v18, v5, v1
	v_sub_f32_e32 v20, v4, v0
	v_sub_f32_e32 v28, v0, v8
	;; [unrolled: 1-line block ×3, first 2 shown]
	v_add_f32_e32 v0, v12, v6
	v_add_f32_e32 v8, v8, v17
	v_sub_f32_e32 v27, v5, v1
	v_sub_f32_e32 v29, v1, v9
	;; [unrolled: 1-line block ×3, first 2 shown]
	v_add_f32_e32 v1, v13, v7
	v_sub_f32_e32 v30, v12, v6
	v_sub_f32_e32 v12, v2, v12
	;; [unrolled: 1-line block ×3, first 2 shown]
	v_add_f32_e32 v9, v9, v18
	v_add_f32_e32 v2, v0, v2
	;; [unrolled: 1-line block ×3, first 2 shown]
	v_sub_f32_e32 v31, v13, v7
	v_sub_f32_e32 v13, v3, v13
	;; [unrolled: 1-line block ×3, first 2 shown]
	v_add_f32_e32 v3, v1, v3
	v_add_f32_e32 v1, v9, v22
	v_mov_b32_e32 v38, v0
	v_mul_f32_e32 v17, 0x3f4a47b2, v28
	v_mul_f32_e32 v18, 0x3f4a47b2, v29
	;; [unrolled: 1-line block ×8, first 2 shown]
	v_fmac_f32_e32 v38, 0xbf955555, v8
	v_mov_b32_e32 v8, v1
	v_fmac_f32_e32 v8, 0xbf955555, v9
	v_fma_f32 v9, v20, s6, -v21
	v_fma_f32 v21, v27, s6, -v22
	;; [unrolled: 1-line block ×3, first 2 shown]
	v_fmac_f32_e32 v17, 0x3d64c772, v4
	v_fma_f32 v4, v27, s7, -v18
	v_fma_f32 v22, v6, s5, -v28
	v_fmac_f32_e32 v28, 0xbeae86e6, v12
	v_fma_f32 v27, v7, s5, -v29
	v_fma_f32 v30, v12, s10, -v30
	;; [unrolled: 1-line block ×3, first 2 shown]
	v_fmac_f32_e32 v18, 0x3d64c772, v5
	v_fmac_f32_e32 v29, 0xbeae86e6, v13
	v_add_f32_e32 v9, v9, v38
	v_add_f32_e32 v13, v21, v8
	;; [unrolled: 1-line block ×4, first 2 shown]
	v_fmac_f32_e32 v22, 0xbee1c552, v2
	v_fmac_f32_e32 v27, 0xbee1c552, v3
	;; [unrolled: 1-line block ×4, first 2 shown]
	v_add_f32_e32 v17, v17, v38
	v_add_f32_e32 v18, v18, v8
	v_fmac_f32_e32 v29, 0xbee1c552, v3
	v_add_f32_e32 v4, v12, v20
	v_sub_f32_e32 v5, v21, v30
	v_sub_f32_e32 v6, v9, v27
	v_add_f32_e32 v7, v22, v13
	v_add_f32_e32 v8, v27, v9
	v_sub_f32_e32 v9, v13, v22
	v_sub_f32_e32 v12, v20, v12
	v_add_f32_e32 v13, v30, v21
	v_add_f32_e32 v20, v66, v71
	;; [unrolled: 1-line block ×3, first 2 shown]
	v_sub_f32_e32 v19, v23, v19
	v_add_f32_e32 v23, v67, v70
	v_fmac_f32_e32 v28, 0xbee1c552, v2
	v_add_f32_e32 v2, v29, v17
	v_sub_f32_e32 v17, v17, v29
	v_add_f32_e32 v27, v24, v33
	v_sub_f32_e32 v24, v24, v33
	v_add_f32_e32 v29, v68, v69
	v_add_f32_e32 v30, v25, v26
	v_sub_f32_e32 v25, v26, v25
	v_add_f32_e32 v26, v23, v20
	v_sub_f32_e32 v3, v18, v28
	;; [unrolled: 2-line block ×3, first 2 shown]
	v_sub_f32_e32 v31, v69, v68
	v_add_f32_e32 v33, v27, v21
	v_add_f32_e32 v46, v25, v24
	;; [unrolled: 1-line block ×3, first 2 shown]
	v_sub_f32_e32 v22, v66, v71
	v_sub_f32_e32 v38, v23, v20
	;; [unrolled: 1-line block ×7, first 2 shown]
	v_add_f32_e32 v20, v31, v28
	v_sub_f32_e32 v48, v25, v24
	v_sub_f32_e32 v25, v19, v25
	;; [unrolled: 1-line block ×3, first 2 shown]
	v_add_f32_e32 v29, v30, v33
	v_add_f32_e32 v30, v46, v19
	;; [unrolled: 1-line block ×3, first 2 shown]
	v_sub_f32_e32 v47, v31, v28
	v_sub_f32_e32 v31, v22, v31
	;; [unrolled: 1-line block ×3, first 2 shown]
	v_add_f32_e32 v22, v20, v22
	v_add_f32_e32 v20, v29, v42
	v_mov_b32_e32 v49, v19
	v_mul_f32_e32 v33, 0x3f4a47b2, v45
	v_mul_f32_e32 v21, 0x3f4a47b2, v21
	;; [unrolled: 1-line block ×8, first 2 shown]
	v_fmac_f32_e32 v49, 0xbf955555, v26
	v_mov_b32_e32 v26, v20
	v_fmac_f32_e32 v26, 0xbf955555, v29
	v_fma_f32 v29, v38, s6, -v41
	v_fma_f32 v41, v44, s6, -v42
	;; [unrolled: 1-line block ×3, first 2 shown]
	v_fmac_f32_e32 v33, 0x3d64c772, v23
	v_fma_f32 v23, v44, s7, -v21
	v_fmac_f32_e32 v21, 0x3d64c772, v27
	v_fma_f32 v28, v28, s5, -v45
	;; [unrolled: 2-line block ×4, first 2 shown]
	v_fma_f32 v42, v25, s10, -v48
	v_add_f32_e32 v33, v33, v49
	v_add_f32_e32 v44, v21, v26
	v_add_f32_e32 v29, v29, v49
	v_add_f32_e32 v41, v41, v26
	v_add_f32_e32 v38, v38, v49
	v_add_f32_e32 v47, v23, v26
	v_fmac_f32_e32 v45, 0xbee1c552, v22
	v_fmac_f32_e32 v46, 0xbee1c552, v30
	;; [unrolled: 1-line block ×6, first 2 shown]
	v_add_f32_e32 v21, v46, v33
	v_sub_f32_e32 v22, v44, v45
	v_add_f32_e32 v23, v42, v38
	v_sub_f32_e32 v24, v47, v31
	v_sub_f32_e32 v25, v29, v27
	v_add_f32_e32 v26, v28, v41
	v_add_f32_e32 v27, v27, v29
	v_sub_f32_e32 v28, v41, v28
	v_sub_f32_e32 v41, v33, v46
	ds_write2_b64 v43, v[0:1], v[2:3] offset1:51
	ds_write2_b64 v43, v[4:5], v[6:7] offset0:102 offset1:153
	ds_write2_b64 v43, v[8:9], v[12:13] offset0:204 offset1:255
	;; [unrolled: 1-line block ×4, first 2 shown]
	v_add_u32_e32 v0, 0xc00, v43
	v_mov_b32_e32 v33, 0
	v_sub_f32_e32 v29, v38, v42
	v_add_f32_e32 v30, v31, v47
	v_add_f32_e32 v42, v45, v44
	ds_write2_b64 v0, v[25:26], v[27:28] offset0:126 offset1:177
	ds_write2_b64 v11, v[29:30], v[41:42] offset0:100 offset1:151
	v_lshlrev_b64 v[0:1], 3, v[32:33]
	v_mov_b32_e32 v38, v33
	v_mov_b32_e32 v19, s9
	v_add_co_u32_e32 v12, vcc, s8, v0
	v_lshlrev_b64 v[8:9], 3, v[37:38]
	v_addc_co_u32_e32 v13, vcc, v19, v1, vcc
	v_mov_b32_e32 v41, v33
	v_add_co_u32_e32 v2, vcc, s8, v8
	v_lshlrev_b64 v[6:7], 3, v[40:41]
	v_addc_co_u32_e32 v3, vcc, v19, v9, vcc
	v_mov_b32_e32 v37, v33
	s_waitcnt lgkmcnt(0)
	; wave barrier
	s_waitcnt lgkmcnt(0)
	global_load_dwordx2 v[30:31], v[12:13], off offset:2832
	global_load_dwordx2 v[44:45], v[2:3], off offset:2832
	v_add_co_u32_e32 v2, vcc, s8, v6
	v_lshlrev_b64 v[4:5], 3, v[36:37]
	v_addc_co_u32_e32 v3, vcc, v19, v7, vcc
	v_add_co_u32_e32 v17, vcc, s8, v4
	v_mov_b32_e32 v40, v33
	v_addc_co_u32_e32 v18, vcc, v19, v5, vcc
	global_load_dwordx2 v[41:42], v[2:3], off offset:2832
	global_load_dwordx2 v[46:47], v[17:18], off offset:2832
	v_lshlrev_b64 v[2:3], 3, v[39:40]
	s_add_u32 s6, s8, 0x1638
	v_add_co_u32_e32 v17, vcc, s8, v2
	v_addc_co_u32_e32 v18, vcc, v19, v3, vcc
	global_load_dwordx2 v[48:49], v[17:18], off offset:2832
	v_add_co_u32_e32 v12, vcc, s4, v12
	v_addc_co_u32_e32 v13, vcc, 0, v13, vcc
	global_load_dwordx2 v[50:51], v[12:13], off offset:776
	global_load_dwordx2 v[52:53], v[12:13], off offset:1184
	ds_read2_b64 v[18:21], v43 offset1:255
	ds_read2_b64 v[22:25], v56 offset0:50 offset1:101
	ds_read2_b64 v[26:29], v56 offset0:152 offset1:203
	ds_read_b64 v[12:13], v15
	v_lshl_add_u32 v17, v36, 3, 0
	ds_read_b64 v[54:55], v17
	ds_read_b64 v[56:57], v43 offset:4080
	ds_read_b64 v[58:59], v16
	ds_read_b64 v[60:61], v14
	ds_read2_b32 v[62:63], v11 offset0:98 offset1:99
	ds_read2_b64 v[36:39], v11 offset0:100 offset1:151
	s_waitcnt lgkmcnt(0)
	; wave barrier
	s_waitcnt lgkmcnt(0)
	s_addc_u32 s7, s9, 0
	v_cmp_ne_u32_e32 vcc, 0, v32
	s_waitcnt vmcnt(6)
	v_mul_f32_e32 v33, v31, v25
	v_fmac_f32_e32 v33, v30, v24
	v_mul_f32_e32 v24, v31, v24
	v_fma_f32 v25, v30, v25, -v24
	s_waitcnt vmcnt(5)
	v_mul_f32_e32 v24, v45, v26
	v_mul_f32_e32 v30, v45, v27
	v_fma_f32 v27, v44, v27, -v24
	v_fmac_f32_e32 v30, v44, v26
	v_sub_f32_e32 v25, v19, v25
	v_sub_f32_e32 v26, v58, v30
	v_fma_f32 v19, v19, 2.0, -v25
	s_waitcnt vmcnt(4)
	v_mul_f32_e32 v24, v42, v28
	v_fma_f32 v40, v41, v29, -v24
	s_waitcnt vmcnt(3)
	v_mul_f32_e32 v24, v47, v56
	v_mul_f32_e32 v31, v42, v29
	v_fma_f32 v42, v46, v57, -v24
	v_fmac_f32_e32 v31, v41, v28
	v_mul_f32_e32 v41, v47, v57
	v_fmac_f32_e32 v41, v46, v56
	s_waitcnt vmcnt(2)
	v_mul_f32_e32 v24, v49, v62
	v_mul_f32_e32 v44, v63, v49
	v_fma_f32 v45, v63, v48, -v24
	v_fmac_f32_e32 v44, v48, v62
	s_waitcnt vmcnt(1)
	v_mul_f32_e32 v24, v36, v51
	v_mul_f32_e32 v46, v37, v51
	v_fma_f32 v47, v37, v50, -v24
	s_waitcnt vmcnt(0)
	v_mul_f32_e32 v48, v39, v53
	v_mul_f32_e32 v24, v38, v53
	v_fmac_f32_e32 v46, v36, v50
	v_fmac_f32_e32 v48, v38, v52
	v_fma_f32 v49, v39, v52, -v24
	v_sub_f32_e32 v24, v18, v33
	v_sub_f32_e32 v30, v12, v31
	;; [unrolled: 1-line block ×3, first 2 shown]
	v_fma_f32 v18, v18, 2.0, -v24
	v_sub_f32_e32 v27, v59, v27
	v_fma_f32 v12, v12, 2.0, -v30
	v_fma_f32 v13, v13, 2.0, -v31
	v_sub_f32_e32 v36, v54, v41
	v_sub_f32_e32 v37, v55, v42
	;; [unrolled: 1-line block ×8, first 2 shown]
	v_fma_f32 v28, v58, 2.0, -v26
	v_fma_f32 v29, v59, 2.0, -v27
	;; [unrolled: 1-line block ×10, first 2 shown]
	ds_write_b64 v43, v[18:19]
	ds_write_b64 v43, v[24:25] offset:2856
	ds_write_b64 v16, v[28:29]
	ds_write_b64 v16, v[26:27] offset:2856
	;; [unrolled: 2-line block ×5, first 2 shown]
	ds_write2_b64 v10, v[20:21], v[22:23] offset0:127 offset1:178
	ds_write2_b64 v11, v[46:47], v[48:49] offset0:100 offset1:151
	s_waitcnt lgkmcnt(0)
	; wave barrier
	s_waitcnt lgkmcnt(0)
	ds_read_b64 v[12:13], v43
	v_lshlrev_b32_e32 v10, 3, v32
	v_sub_u32_e32 v18, 0, v10
                                        ; implicit-def: $vgpr10
                                        ; implicit-def: $vgpr19
                                        ; implicit-def: $vgpr20
	s_and_saveexec_b64 s[4:5], vcc
	s_xor_b64 s[4:5], exec, s[4:5]
	s_cbranch_execz .LBB0_21
; %bb.20:
	v_mov_b32_e32 v11, s7
	v_add_co_u32_e32 v10, vcc, s6, v0
	v_addc_co_u32_e32 v11, vcc, v11, v1, vcc
	global_load_dwordx2 v[21:22], v[10:11], off
	ds_read_b64 v[10:11], v18 offset:5712
	s_waitcnt lgkmcnt(0)
	v_add_f32_e32 v23, v10, v12
	v_sub_f32_e32 v10, v12, v10
	v_add_f32_e32 v19, v11, v13
	v_sub_f32_e32 v11, v13, v11
	v_mul_f32_e32 v13, 0.5, v10
	v_mul_f32_e32 v12, 0.5, v19
	;; [unrolled: 1-line block ×3, first 2 shown]
	s_waitcnt vmcnt(0)
	v_mul_f32_e32 v11, v22, v13
	v_fma_f32 v20, v12, v22, v10
	v_fma_f32 v22, v12, v22, -v10
	v_fma_f32 v19, 0.5, v23, v11
	v_fma_f32 v10, v23, 0.5, -v11
	v_fma_f32 v20, -v21, v13, v20
	v_fmac_f32_e32 v19, v21, v12
	v_fma_f32 v10, -v21, v12, v10
	v_fma_f32 v11, -v21, v13, v22
                                        ; implicit-def: $vgpr12_vgpr13
.LBB0_21:
	s_andn2_saveexec_b64 s[4:5], s[4:5]
	s_cbranch_execz .LBB0_23
; %bb.22:
	v_mov_b32_e32 v20, 0
	ds_read_b32 v11, v20 offset:2860
	s_waitcnt lgkmcnt(1)
	v_add_f32_e32 v19, v12, v13
	v_sub_f32_e32 v10, v12, v13
	s_waitcnt lgkmcnt(0)
	v_xor_b32_e32 v11, 0x80000000, v11
	ds_write_b32 v20, v11 offset:2860
	v_mov_b32_e32 v11, 0
.LBB0_23:
	s_or_b64 exec, exec, s[4:5]
	s_waitcnt lgkmcnt(0)
	v_mov_b32_e32 v12, s7
	v_add_co_u32_e32 v8, vcc, s6, v8
	v_addc_co_u32_e32 v9, vcc, v12, v9, vcc
	global_load_dwordx2 v[8:9], v[8:9], off
	v_add_co_u32_e32 v6, vcc, s6, v6
	v_addc_co_u32_e32 v7, vcc, v12, v7, vcc
	global_load_dwordx2 v[6:7], v[6:7], off
	;; [unrolled: 3-line block ×3, first 2 shown]
	ds_write2_b32 v43, v19, v20 offset1:1
	ds_write_b64 v18, v[10:11] offset:5712
	v_mov_b32_e32 v19, s7
	v_add_co_u32_e32 v2, vcc, s6, v2
	v_addc_co_u32_e32 v3, vcc, v19, v3, vcc
	ds_read_b64 v[10:11], v16
	ds_read_b64 v[12:13], v18 offset:5304
	global_load_dwordx2 v[2:3], v[2:3], off
	v_mov_b32_e32 v20, s7
	s_waitcnt lgkmcnt(0)
	v_add_f32_e32 v19, v10, v12
	v_sub_f32_e32 v10, v10, v12
	v_add_f32_e32 v21, v11, v13
	v_sub_f32_e32 v11, v11, v13
	v_mul_f32_e32 v10, 0.5, v10
	v_mul_f32_e32 v12, 0.5, v21
	;; [unrolled: 1-line block ×3, first 2 shown]
	s_waitcnt vmcnt(3)
	v_mul_f32_e32 v13, v9, v10
	v_fma_f32 v21, v12, v9, v11
	v_fma_f32 v9, v12, v9, -v11
	v_fma_f32 v11, 0.5, v19, v13
	v_fma_f32 v13, v19, 0.5, -v13
	v_fma_f32 v21, -v8, v10, v21
	v_fma_f32 v9, -v8, v10, v9
	v_fmac_f32_e32 v11, v8, v12
	v_fma_f32 v8, -v8, v12, v13
	v_add_co_u32_e32 v12, vcc, s6, v0
	ds_write2_b32 v16, v11, v21 offset1:1
	ds_write_b64 v18, v[8:9] offset:5304
	v_addc_co_u32_e32 v13, vcc, v20, v1, vcc
	ds_read_b64 v[8:9], v15
	ds_read_b64 v[10:11], v18 offset:4896
	global_load_dwordx2 v[19:20], v[12:13], off offset:2040
	s_waitcnt lgkmcnt(0)
	v_add_f32_e32 v16, v8, v10
	v_sub_f32_e32 v8, v8, v10
	v_add_f32_e32 v21, v9, v11
	v_sub_f32_e32 v9, v9, v11
	v_mul_f32_e32 v8, 0.5, v8
	v_mul_f32_e32 v10, 0.5, v21
	;; [unrolled: 1-line block ×3, first 2 shown]
	s_waitcnt vmcnt(3)
	v_mul_f32_e32 v11, v7, v8
	v_fma_f32 v21, v10, v7, v9
	v_fma_f32 v7, v10, v7, -v9
	v_fma_f32 v9, 0.5, v16, v11
	v_fma_f32 v21, -v6, v8, v21
	v_fma_f32 v11, v16, 0.5, -v11
	v_fmac_f32_e32 v9, v6, v10
	v_fma_f32 v7, -v6, v8, v7
	v_fma_f32 v6, -v6, v10, v11
	ds_write2_b32 v15, v9, v21 offset1:1
	ds_write_b64 v18, v[6:7] offset:4896
	ds_read_b64 v[6:7], v17
	ds_read_b64 v[8:9], v18 offset:4488
	global_load_dwordx2 v[10:11], v[12:13], off offset:2448
	s_waitcnt lgkmcnt(0)
	v_add_f32_e32 v12, v6, v8
	v_sub_f32_e32 v6, v6, v8
	v_add_f32_e32 v13, v7, v9
	v_sub_f32_e32 v7, v7, v9
	v_mul_f32_e32 v6, 0.5, v6
	v_mul_f32_e32 v8, 0.5, v13
	;; [unrolled: 1-line block ×3, first 2 shown]
	s_waitcnt vmcnt(3)
	v_mul_f32_e32 v9, v5, v6
	v_fma_f32 v13, v8, v5, v7
	v_fma_f32 v5, v8, v5, -v7
	v_fma_f32 v7, 0.5, v12, v9
	v_fma_f32 v13, -v4, v6, v13
	v_fma_f32 v9, v12, 0.5, -v9
	v_fmac_f32_e32 v7, v4, v8
	v_fma_f32 v5, -v4, v6, v5
	v_fma_f32 v4, -v4, v8, v9
	ds_write2_b32 v17, v7, v13 offset1:1
	ds_write_b64 v18, v[4:5] offset:4488
	ds_read_b64 v[4:5], v14
	ds_read_b64 v[6:7], v18 offset:4080
	s_waitcnt lgkmcnt(0)
	v_add_f32_e32 v8, v4, v6
	v_sub_f32_e32 v4, v4, v6
	v_add_f32_e32 v9, v5, v7
	v_sub_f32_e32 v5, v5, v7
	v_mul_f32_e32 v4, 0.5, v4
	v_mul_f32_e32 v6, 0.5, v9
	v_mul_f32_e32 v5, 0.5, v5
	s_waitcnt vmcnt(2)
	v_mul_f32_e32 v7, v3, v4
	v_fma_f32 v9, v6, v3, v5
	v_fma_f32 v3, v6, v3, -v5
	v_fma_f32 v5, 0.5, v8, v7
	v_fma_f32 v9, -v2, v4, v9
	v_fma_f32 v7, v8, 0.5, -v7
	v_fmac_f32_e32 v5, v2, v6
	v_fma_f32 v3, -v2, v4, v3
	v_fma_f32 v2, -v2, v6, v7
	ds_write2_b32 v14, v5, v9 offset1:1
	ds_write_b64 v18, v[2:3] offset:4080
	ds_read_b64 v[2:3], v43 offset:2040
	ds_read_b64 v[4:5], v18 offset:3672
	s_waitcnt lgkmcnt(0)
	v_add_f32_e32 v6, v2, v4
	v_sub_f32_e32 v2, v2, v4
	v_add_f32_e32 v7, v3, v5
	v_sub_f32_e32 v3, v3, v5
	v_mul_f32_e32 v5, 0.5, v2
	v_mul_f32_e32 v4, 0.5, v7
	;; [unrolled: 1-line block ×3, first 2 shown]
	s_waitcnt vmcnt(1)
	v_mul_f32_e32 v2, v20, v5
	v_fma_f32 v7, v4, v20, v3
	v_fma_f32 v8, 0.5, v6, v2
	v_fma_f32 v2, v6, 0.5, -v2
	v_fma_f32 v7, -v19, v5, v7
	v_fmac_f32_e32 v8, v19, v4
	v_fma_f32 v2, -v19, v4, v2
	v_fma_f32 v3, v4, v20, -v3
	v_add_u32_e32 v4, 0x400, v43
	v_fma_f32 v3, -v19, v5, v3
	ds_write2_b32 v4, v8, v7 offset0:254 offset1:255
	ds_write_b64 v18, v[2:3] offset:3672
	ds_read_b64 v[2:3], v43 offset:2448
	ds_read_b64 v[4:5], v18 offset:3264
	s_waitcnt lgkmcnt(0)
	v_add_f32_e32 v6, v2, v4
	v_sub_f32_e32 v2, v2, v4
	v_add_f32_e32 v7, v3, v5
	v_sub_f32_e32 v3, v3, v5
	v_mul_f32_e32 v4, 0.5, v2
	v_mul_f32_e32 v7, 0.5, v7
	;; [unrolled: 1-line block ×3, first 2 shown]
	s_waitcnt vmcnt(0)
	v_mul_f32_e32 v2, v11, v4
	v_fma_f32 v5, 0.5, v6, v2
	v_fma_f32 v8, v7, v11, v3
	v_fma_f32 v3, v7, v11, -v3
	v_fmac_f32_e32 v5, v10, v7
	v_fma_f32 v8, -v10, v4, v8
	v_fma_f32 v2, v6, 0.5, -v2
	v_fma_f32 v3, -v10, v4, v3
	v_add_u32_e32 v4, 0x800, v43
	v_fma_f32 v2, -v10, v7, v2
	ds_write2_b32 v4, v5, v8 offset0:100 offset1:101
	ds_write_b64 v18, v[2:3] offset:3264
	s_waitcnt lgkmcnt(0)
	; wave barrier
	s_waitcnt lgkmcnt(0)
	s_and_saveexec_b64 s[4:5], s[0:1]
	s_cbranch_execz .LBB0_26
; %bb.24:
	ds_read2_b64 v[5:8], v43 offset1:51
	v_mov_b32_e32 v2, s3
	v_add_co_u32_e32 v3, vcc, s2, v34
	v_addc_co_u32_e32 v2, vcc, v2, v35, vcc
	ds_read2_b64 v[9:12], v43 offset0:102 offset1:153
	v_add_co_u32_e32 v0, vcc, v3, v0
	v_addc_co_u32_e32 v1, vcc, v2, v1, vcc
	ds_read2_b64 v[13:16], v43 offset0:204 offset1:255
	s_waitcnt lgkmcnt(2)
	global_store_dwordx2 v[0:1], v[5:6], off
	global_store_dwordx2 v[0:1], v[7:8], off offset:408
	s_waitcnt lgkmcnt(1)
	global_store_dwordx2 v[0:1], v[9:10], off offset:816
	global_store_dwordx2 v[0:1], v[11:12], off offset:1224
	s_waitcnt lgkmcnt(0)
	global_store_dwordx2 v[0:1], v[13:14], off offset:1632
	ds_read2_b64 v[5:8], v4 offset0:50 offset1:101
	ds_read2_b64 v[9:12], v4 offset0:152 offset1:203
	v_add_u32_e32 v4, 0xc00, v43
	global_store_dwordx2 v[0:1], v[15:16], off offset:2040
	ds_read2_b64 v[13:16], v4 offset0:126 offset1:177
	s_waitcnt lgkmcnt(2)
	global_store_dwordx2 v[0:1], v[5:6], off offset:2448
	global_store_dwordx2 v[0:1], v[7:8], off offset:2856
	s_waitcnt lgkmcnt(1)
	global_store_dwordx2 v[0:1], v[9:10], off offset:3264
	global_store_dwordx2 v[0:1], v[11:12], off offset:3672
	s_waitcnt lgkmcnt(0)
	global_store_dwordx2 v[0:1], v[13:14], off offset:4080
	v_add_u32_e32 v4, 0x1000, v43
	ds_read2_b64 v[4:7], v4 offset0:100 offset1:151
	v_add_co_u32_e32 v0, vcc, 0x1000, v0
	v_addc_co_u32_e32 v1, vcc, 0, v1, vcc
	v_cmp_eq_u32_e32 vcc, 50, v32
	global_store_dwordx2 v[0:1], v[15:16], off offset:392
	s_waitcnt lgkmcnt(0)
	global_store_dwordx2 v[0:1], v[4:5], off offset:800
	global_store_dwordx2 v[0:1], v[6:7], off offset:1208
	s_and_b64 exec, exec, vcc
	s_cbranch_execz .LBB0_26
; %bb.25:
	v_mov_b32_e32 v0, 0
	ds_read_b64 v[0:1], v0 offset:5712
	v_add_co_u32_e32 v3, vcc, 0x1000, v3
	v_addc_co_u32_e32 v4, vcc, 0, v2, vcc
	s_waitcnt lgkmcnt(0)
	global_store_dwordx2 v[3:4], v[0:1], off offset:1616
.LBB0_26:
	s_endpgm
	.section	.rodata,"a",@progbits
	.p2align	6, 0x0
	.amdhsa_kernel fft_rtc_back_len714_factors_3_17_7_2_wgs_51_tpt_51_halfLds_sp_ip_CI_unitstride_sbrr_R2C_dirReg
		.amdhsa_group_segment_fixed_size 0
		.amdhsa_private_segment_fixed_size 0
		.amdhsa_kernarg_size 88
		.amdhsa_user_sgpr_count 6
		.amdhsa_user_sgpr_private_segment_buffer 1
		.amdhsa_user_sgpr_dispatch_ptr 0
		.amdhsa_user_sgpr_queue_ptr 0
		.amdhsa_user_sgpr_kernarg_segment_ptr 1
		.amdhsa_user_sgpr_dispatch_id 0
		.amdhsa_user_sgpr_flat_scratch_init 0
		.amdhsa_user_sgpr_private_segment_size 0
		.amdhsa_uses_dynamic_stack 0
		.amdhsa_system_sgpr_private_segment_wavefront_offset 0
		.amdhsa_system_sgpr_workgroup_id_x 1
		.amdhsa_system_sgpr_workgroup_id_y 0
		.amdhsa_system_sgpr_workgroup_id_z 0
		.amdhsa_system_sgpr_workgroup_info 0
		.amdhsa_system_vgpr_workitem_id 0
		.amdhsa_next_free_vgpr 177
		.amdhsa_next_free_sgpr 22
		.amdhsa_reserve_vcc 1
		.amdhsa_reserve_flat_scratch 0
		.amdhsa_float_round_mode_32 0
		.amdhsa_float_round_mode_16_64 0
		.amdhsa_float_denorm_mode_32 3
		.amdhsa_float_denorm_mode_16_64 3
		.amdhsa_dx10_clamp 1
		.amdhsa_ieee_mode 1
		.amdhsa_fp16_overflow 0
		.amdhsa_exception_fp_ieee_invalid_op 0
		.amdhsa_exception_fp_denorm_src 0
		.amdhsa_exception_fp_ieee_div_zero 0
		.amdhsa_exception_fp_ieee_overflow 0
		.amdhsa_exception_fp_ieee_underflow 0
		.amdhsa_exception_fp_ieee_inexact 0
		.amdhsa_exception_int_div_zero 0
	.end_amdhsa_kernel
	.text
.Lfunc_end0:
	.size	fft_rtc_back_len714_factors_3_17_7_2_wgs_51_tpt_51_halfLds_sp_ip_CI_unitstride_sbrr_R2C_dirReg, .Lfunc_end0-fft_rtc_back_len714_factors_3_17_7_2_wgs_51_tpt_51_halfLds_sp_ip_CI_unitstride_sbrr_R2C_dirReg
                                        ; -- End function
	.section	.AMDGPU.csdata,"",@progbits
; Kernel info:
; codeLenInByte = 11292
; NumSgprs: 26
; NumVgprs: 177
; ScratchSize: 0
; MemoryBound: 0
; FloatMode: 240
; IeeeMode: 1
; LDSByteSize: 0 bytes/workgroup (compile time only)
; SGPRBlocks: 3
; VGPRBlocks: 44
; NumSGPRsForWavesPerEU: 26
; NumVGPRsForWavesPerEU: 177
; Occupancy: 1
; WaveLimiterHint : 1
; COMPUTE_PGM_RSRC2:SCRATCH_EN: 0
; COMPUTE_PGM_RSRC2:USER_SGPR: 6
; COMPUTE_PGM_RSRC2:TRAP_HANDLER: 0
; COMPUTE_PGM_RSRC2:TGID_X_EN: 1
; COMPUTE_PGM_RSRC2:TGID_Y_EN: 0
; COMPUTE_PGM_RSRC2:TGID_Z_EN: 0
; COMPUTE_PGM_RSRC2:TIDIG_COMP_CNT: 0
	.type	__hip_cuid_73606bc812c2867,@object ; @__hip_cuid_73606bc812c2867
	.section	.bss,"aw",@nobits
	.globl	__hip_cuid_73606bc812c2867
__hip_cuid_73606bc812c2867:
	.byte	0                               ; 0x0
	.size	__hip_cuid_73606bc812c2867, 1

	.ident	"AMD clang version 19.0.0git (https://github.com/RadeonOpenCompute/llvm-project roc-6.4.0 25133 c7fe45cf4b819c5991fe208aaa96edf142730f1d)"
	.section	".note.GNU-stack","",@progbits
	.addrsig
	.addrsig_sym __hip_cuid_73606bc812c2867
	.amdgpu_metadata
---
amdhsa.kernels:
  - .args:
      - .actual_access:  read_only
        .address_space:  global
        .offset:         0
        .size:           8
        .value_kind:     global_buffer
      - .offset:         8
        .size:           8
        .value_kind:     by_value
      - .actual_access:  read_only
        .address_space:  global
        .offset:         16
        .size:           8
        .value_kind:     global_buffer
      - .actual_access:  read_only
        .address_space:  global
        .offset:         24
        .size:           8
        .value_kind:     global_buffer
      - .offset:         32
        .size:           8
        .value_kind:     by_value
      - .actual_access:  read_only
        .address_space:  global
        .offset:         40
        .size:           8
        .value_kind:     global_buffer
      - .actual_access:  read_only
        .address_space:  global
        .offset:         48
        .size:           8
        .value_kind:     global_buffer
      - .offset:         56
        .size:           4
        .value_kind:     by_value
      - .actual_access:  read_only
        .address_space:  global
        .offset:         64
        .size:           8
        .value_kind:     global_buffer
      - .actual_access:  read_only
        .address_space:  global
        .offset:         72
        .size:           8
        .value_kind:     global_buffer
      - .address_space:  global
        .offset:         80
        .size:           8
        .value_kind:     global_buffer
    .group_segment_fixed_size: 0
    .kernarg_segment_align: 8
    .kernarg_segment_size: 88
    .language:       OpenCL C
    .language_version:
      - 2
      - 0
    .max_flat_workgroup_size: 51
    .name:           fft_rtc_back_len714_factors_3_17_7_2_wgs_51_tpt_51_halfLds_sp_ip_CI_unitstride_sbrr_R2C_dirReg
    .private_segment_fixed_size: 0
    .sgpr_count:     26
    .sgpr_spill_count: 0
    .symbol:         fft_rtc_back_len714_factors_3_17_7_2_wgs_51_tpt_51_halfLds_sp_ip_CI_unitstride_sbrr_R2C_dirReg.kd
    .uniform_work_group_size: 1
    .uses_dynamic_stack: false
    .vgpr_count:     177
    .vgpr_spill_count: 0
    .wavefront_size: 64
amdhsa.target:   amdgcn-amd-amdhsa--gfx906
amdhsa.version:
  - 1
  - 2
...

	.end_amdgpu_metadata
